;; amdgpu-corpus repo=ROCm/rccl kind=compiled arch=gfx1100 opt=O3
	.text
	.amdgcn_target "amdgcn-amd-amdhsa--gfx1100"
	.amdhsa_code_object_version 6
	.p2align	2                               ; -- Begin function _ZN12_GLOBAL__N_17runRingI12rccl_bfloat810FuncMinMaxIS1_E7ProtoLLLi0ELi1ELi0EEEviiP15ncclDevWorkColl
	.type	_ZN12_GLOBAL__N_17runRingI12rccl_bfloat810FuncMinMaxIS1_E7ProtoLLLi0ELi1ELi0EEEviiP15ncclDevWorkColl,@function
_ZN12_GLOBAL__N_17runRingI12rccl_bfloat810FuncMinMaxIS1_E7ProtoLLLi0ELi1ELi0EEEviiP15ncclDevWorkColl: ; @_ZN12_GLOBAL__N_17runRingI12rccl_bfloat810FuncMinMaxIS1_E7ProtoLLLi0ELi1ELi0EEEviiP15ncclDevWorkColl
; %bb.0:
	s_waitcnt vmcnt(0) expcnt(0) lgkmcnt(0)
	s_cbranch_execnz .LBB0_15
; %bb.1:
	v_mov_b32_e32 v4, v0
	s_clause 0x2
	flat_load_b32 v0, v[2:3]
	flat_load_b128 v[5:8], v[2:3] offset:72
	flat_load_b64 v[17:18], v[2:3] offset:88
	s_mov_b32 s0, exec_lo
                                        ; implicit-def: $vgpr25_vgpr26
	s_waitcnt vmcnt(2) lgkmcnt(2)
	v_and_b32_e32 v11, 0xff, v0
	v_bfe_u32 v10, v0, 8, 8
	s_delay_alu instid0(VALU_DEP_2) | instskip(SKIP_3) | instid1(VALU_DEP_1)
	v_not_b32_e32 v0, v11
	ds_load_b32 v9, v0
	ds_load_b64 v[23:24], v0
	v_add_nc_u32_e32 v12, v10, v0
	v_ashrrev_i32_e32 v13, 31, v12
	s_waitcnt vmcnt(1) lgkmcnt(3)
	v_mul_lo_u32 v14, v8, v12
	v_mad_u64_u32 v[19:20], null, v7, v12, 0
	s_delay_alu instid0(VALU_DEP_3) | instskip(NEXT) | instid1(VALU_DEP_1)
	v_mul_lo_u32 v12, v7, v13
	v_add3_u32 v66, v20, v12, v14
	s_waitcnt lgkmcnt(1)
	v_readfirstlane_b32 s14, v9
                                        ; implicit-def: $vgpr20_vgpr21
	v_cmpx_ne_u32_e64 v11, v9
	s_xor_b32 s0, exec_lo, s0
	s_cbranch_execz .LBB0_7
; %bb.2:
	s_mov_b32 s1, exec_lo
                                        ; implicit-def: $vgpr20_vgpr21
                                        ; implicit-def: $vgpr25_vgpr26
	v_cmpx_ne_u32_e64 v10, v9
	s_xor_b32 s1, exec_lo, s1
	s_cbranch_execz .LBB0_4
; %bb.3:
	flat_load_b64 v[10:11], v[2:3] offset:96
	v_add_nc_u32_e32 v0, v9, v0
	s_delay_alu instid0(VALU_DEP_1) | instskip(SKIP_2) | instid1(VALU_DEP_3)
	v_ashrrev_i32_e32 v9, 31, v0
	v_mul_lo_u32 v12, v8, v0
	v_mad_u64_u32 v[25:26], null, v7, v0, v[5:6]
	v_mul_lo_u32 v9, v7, v9
	s_delay_alu instid0(VALU_DEP_1)
	v_add3_u32 v26, v12, v26, v9
	s_waitcnt vmcnt(0) lgkmcnt(0)
	v_lshrrev_b64 v[20:21], 17, v[10:11]
.LBB0_4:
	s_and_not1_saveexec_b32 s1, s1
	s_cbranch_execz .LBB0_6
; %bb.5:
	flat_load_b32 v0, v[2:3] offset:100
	v_add_co_u32 v25, vcc_lo, v19, v5
	v_add_co_ci_u32_e32 v26, vcc_lo, v66, v6, vcc_lo
	s_waitcnt vmcnt(1)
	v_dual_mov_b32 v7, v17 :: v_dual_mov_b32 v8, v18
	s_waitcnt vmcnt(0) lgkmcnt(0)
	v_lshrrev_b32_e32 v20, 6, v0
.LBB0_6:
	s_or_b32 exec_lo, exec_lo, s1
.LBB0_7:
	s_and_not1_saveexec_b32 s0, s0
	s_cbranch_execz .LBB0_9
; %bb.8:
	flat_load_b64 v[7:8], v[2:3] offset:96
	v_mov_b32_e32 v25, 0
	v_mov_b32_e32 v26, 0
	s_waitcnt vmcnt(0) lgkmcnt(0)
	v_lshlrev_b64 v[20:21], 4, v[7:8]
	v_dual_mov_b32 v8, v6 :: v_dual_mov_b32 v7, v5
.LBB0_9:
	s_or_b32 exec_lo, exec_lo, s0
	s_load_b32 s0, s[8:9], 0x0
	v_mov_b32_e32 v0, 0
	flat_load_b64 v[54:55], v[2:3] offset:104
	s_mov_b32 s2, 0
	s_waitcnt lgkmcnt(0)
	s_cmp_lt_u32 s12, s0
	s_cselect_b32 s0, 12, 18
	s_delay_alu instid0(SALU_CYCLE_1)
	s_add_u32 s0, s8, s0
	s_addc_u32 s1, s9, 0
	s_clause 0x2
	flat_load_b128 v[9:12], v[2:3] offset:16
	flat_load_u16 v14, v[2:3] offset:8
	flat_load_b32 v13, v[2:3] offset:4
	global_load_u16 v0, v0, s[0:1]
	s_cbranch_execnz .LBB0_17
; %bb.10:
	s_waitcnt vmcnt(0)
	ds_load_b32 v2, v0
	s_waitcnt lgkmcnt(1)
	v_lshrrev_b64 v[13:14], 31, v[13:14]
	s_delay_alu instid0(VALU_DEP_1)
	v_and_b32_e32 v14, 3, v13
	v_and_b32_e32 v13, 31, v4
	s_waitcnt lgkmcnt(0)
	v_cmp_gt_i32_e32 vcc_lo, 0, v2
	v_readfirstlane_b32 s1, v2
	s_cbranch_vccnz .LBB0_19
; %bb.11:
	v_cmp_eq_u32_e32 vcc_lo, 0, v13
	s_cbranch_execnz .LBB0_23
; %bb.12:
	ds_load_b64 v[15:16], v0
	v_mov_b32_e32 v3, 0
	v_and_b32_e32 v21, 0xffff, v14
	s_mov_b32 s2, 1
	s_delay_alu instid0(VALU_DEP_2) | instskip(SKIP_1) | instid1(VALU_DEP_1)
	v_lshlrev_b64 v[2:3], 3, v[2:3]
	s_waitcnt lgkmcnt(0)
	v_add_co_u32 v2, s0, v15, v2
	s_delay_alu instid0(VALU_DEP_1)
	v_add_co_ci_u32_e64 v3, s0, v16, v3, s0
	flat_load_b64 v[2:3], v[2:3]
	s_waitcnt vmcnt(0) lgkmcnt(0)
	v_mad_u64_u32 v[15:16], null, 0xa8, v21, v[2:3]
	s_clause 0x1
	flat_load_b64 v[29:30], v[15:16] offset:504
	flat_load_b64 v[32:33], v[15:16] offset:608
	v_add_co_u32 v2, s0, 0x1f8, v15
	s_delay_alu instid0(VALU_DEP_1) | instskip(NEXT) | instid1(VALU_DEP_1)
	v_add_co_ci_u32_e64 v3, s0, 0, v16, s0
	v_dual_cndmask_b32 v27, 0, v2 :: v_dual_cndmask_b32 v28, 0, v3
	s_cbranch_execz .LBB0_20
.LBB0_13:
	s_trap 2
	s_sendmsg_rtn_b32 s0, sendmsg(MSG_RTN_GET_DOORBELL)
	s_mov_b32 ttmp2, m0
	s_waitcnt lgkmcnt(0)
	s_and_b32 s0, s0, 0x3ff
	s_delay_alu instid0(SALU_CYCLE_1) | instskip(NEXT) | instid1(SALU_CYCLE_1)
	s_bitset1_b32 s0, 10
	s_mov_b32 m0, s0
	s_sendmsg sendmsg(MSG_INTERRUPT)
	s_mov_b32 m0, ttmp2
.LBB0_14:                               ; =>This Inner Loop Header: Depth=1
	s_sethalt 5
	s_branch .LBB0_14
.LBB0_15:
	s_trap 2
	s_sendmsg_rtn_b32 s0, sendmsg(MSG_RTN_GET_DOORBELL)
	s_mov_b32 ttmp2, m0
	s_waitcnt lgkmcnt(0)
	s_and_b32 s0, s0, 0x3ff
	s_delay_alu instid0(SALU_CYCLE_1) | instskip(NEXT) | instid1(SALU_CYCLE_1)
	s_bitset1_b32 s0, 10
	s_mov_b32 m0, s0
	s_sendmsg sendmsg(MSG_INTERRUPT)
	s_mov_b32 m0, ttmp2
.LBB0_16:                               ; =>This Inner Loop Header: Depth=1
	s_sethalt 5
	s_branch .LBB0_16
.LBB0_17:
	s_trap 2
	s_sendmsg_rtn_b32 s0, sendmsg(MSG_RTN_GET_DOORBELL)
	s_mov_b32 ttmp2, m0
	s_waitcnt lgkmcnt(0)
	s_and_b32 s0, s0, 0x3ff
	s_delay_alu instid0(SALU_CYCLE_1) | instskip(NEXT) | instid1(SALU_CYCLE_1)
	s_bitset1_b32 s0, 10
	s_mov_b32 m0, s0
	s_sendmsg sendmsg(MSG_INTERRUPT)
	s_mov_b32 m0, ttmp2
.LBB0_18:                               ; =>This Inner Loop Header: Depth=1
	s_sethalt 5
	s_branch .LBB0_18
.LBB0_19:
	v_mov_b32_e32 v27, 0
	v_mov_b32_e32 v28, 0
                                        ; implicit-def: $vgpr32_vgpr33
                                        ; implicit-def: $vgpr29_vgpr30
	s_cbranch_execnz .LBB0_13
.LBB0_20:
	ds_load_b32 v2, v0
	v_mov_b32_e32 v36, 0
	v_mov_b32_e32 v37, 0
	s_waitcnt lgkmcnt(0)
	v_cmp_gt_i32_e32 vcc_lo, 0, v2
	s_cbranch_vccnz .LBB0_25
; %bb.21:
	s_cbranch_execnz .LBB0_957
; %bb.22:
	ds_load_b64 v[15:16], v0
	v_mov_b32_e32 v3, 0
	s_delay_alu instid0(VALU_DEP_1) | instskip(SKIP_1) | instid1(VALU_DEP_1)
	v_lshlrev_b64 v[2:3], 3, v[2:3]
	s_waitcnt lgkmcnt(0)
	v_add_co_u32 v2, vcc_lo, v15, v2
	s_delay_alu instid0(VALU_DEP_2)
	v_add_co_ci_u32_e32 v3, vcc_lo, v16, v3, vcc_lo
	v_and_b32_e32 v16, 0xffff, v14
	v_cmp_eq_u32_e32 vcc_lo, 0, v13
	flat_load_b64 v[2:3], v[2:3]
	s_waitcnt vmcnt(0) lgkmcnt(0)
	v_mad_u64_u32 v[14:15], null, 0xa8, v16, v[2:3]
	s_clause 0x1
	flat_load_b64 v[38:39], v[14:15]
	flat_load_b64 v[21:22], v[14:15] offset:104
	v_dual_cndmask_b32 v35, 0, v15 :: v_dual_cndmask_b32 v34, 0, v14
	s_branch .LBB0_26
.LBB0_23:
	s_trap 2
	s_sendmsg_rtn_b32 s0, sendmsg(MSG_RTN_GET_DOORBELL)
	s_mov_b32 ttmp2, m0
	s_waitcnt lgkmcnt(0)
	s_and_b32 s0, s0, 0x3ff
	s_delay_alu instid0(SALU_CYCLE_1) | instskip(NEXT) | instid1(SALU_CYCLE_1)
	s_bitset1_b32 s0, 10
	s_mov_b32 m0, s0
	s_sendmsg sendmsg(MSG_INTERRUPT)
	s_mov_b32 m0, ttmp2
.LBB0_24:                               ; =>This Inner Loop Header: Depth=1
	s_sethalt 5
	s_branch .LBB0_24
.LBB0_25:
	s_delay_alu instid0(VALU_DEP_2)
	v_dual_mov_b32 v34, v36 :: v_dual_mov_b32 v35, v37
                                        ; implicit-def: $vgpr21_vgpr22
                                        ; implicit-def: $vgpr38_vgpr39
.LBB0_26:
	v_subrev_nc_u32_e32 v2, 32, v1
	v_cmp_gt_u32_e64 s0, s2, v13
                                        ; implicit-def: $vgpr48_vgpr49
	s_delay_alu instid0(VALU_DEP_2) | instskip(NEXT) | instid1(VALU_DEP_2)
	v_cmp_le_i32_e32 vcc_lo, v2, v4
	s_and_b32 s11, vcc_lo, s0
	s_delay_alu instid0(SALU_CYCLE_1)
	s_and_saveexec_b32 s0, s11
; %bb.27:
	s_clause 0x1
	flat_load_b64 v[36:37], v[27:28] offset:56
	flat_load_b64 v[48:49], v[27:28] offset:104
; %bb.28:
	s_or_b32 exec_lo, exec_lo, s0
	v_mov_b32_e32 v2, 0
	v_mov_b32_e32 v3, 0
	v_cmp_gt_i32_e64 s0, s2, v4
                                        ; implicit-def: $vgpr52_vgpr53
	s_delay_alu instid0(VALU_DEP_2) | instskip(SKIP_1) | instid1(VALU_DEP_3)
	v_dual_mov_b32 v14, v3 :: v_dual_mov_b32 v13, v2
	v_dual_mov_b32 v51, v3 :: v_dual_mov_b32 v50, v2
	s_and_saveexec_b32 s2, s0
	s_cbranch_execz .LBB0_30
; %bb.29:
	flat_load_b64 v[50:51], v[34:35] offset:56
	s_waitcnt vmcnt(0) lgkmcnt(0)
	flat_load_b64 v[52:53], v[50:51] glc dlc
	s_waitcnt vmcnt(0)
	flat_load_b128 v[13:16], v[34:35] offset:96
.LBB0_30:
	s_or_b32 exec_lo, exec_lo, s2
	v_and_b32_e32 v0, 0xffff, v0
	s_mov_b32 s12, exec_lo
	v_cmpx_ne_u64_e32 0, v[7:8]
	s_cbranch_execz .LBB0_945
; %bb.31:
	v_add_co_u32 v2, vcc_lo, v17, v5
	s_ashr_i32 s2, s1, 31
	v_add_co_ci_u32_e32 v3, vcc_lo, v18, v6, vcc_lo
	s_lshr_b32 s2, s2, 29
	s_ashr_i32 s15, s14, 31
	v_add_co_u32 v98, vcc_lo, v2, v19
	s_add_i32 s1, s1, s2
	s_lshl_b64 s[2:3], s[14:15], 2
	v_add_co_ci_u32_e32 v99, vcc_lo, v3, v66, vcc_lo
	v_add_co_u32 v3, vcc_lo, v23, s2
	v_add_co_ci_u32_e32 v5, vcc_lo, s3, v24, vcc_lo
	v_ashrrev_i32_e32 v2, 31, v1
	s_delay_alu instid0(VALU_DEP_3) | instskip(SKIP_1) | instid1(VALU_DEP_4)
	v_add_co_u32 v66, vcc_lo, v3, -4
	v_lshlrev_b32_e32 v101, 3, v4
	v_add_co_ci_u32_e32 v67, vcc_lo, -1, v5, vcc_lo
	v_dual_mov_b32 v130, 0 :: v_dual_and_b32 v5, 31, v31
	v_lshrrev_b32_e32 v6, 27, v2
	s_delay_alu instid0(VALU_DEP_4) | instskip(SKIP_1) | instid1(VALU_DEP_4)
	v_ashrrev_i32_e32 v112, 31, v101
	v_add_co_u32 v114, vcc_lo, v11, v101
	v_cmp_eq_u32_e64 s5, 0, v5
	v_ashrrev_i32_e32 v5, 31, v4
	v_add_nc_u32_e32 v3, v1, v6
	v_dual_mov_b32 v55, 0 :: v_dual_and_b32 v64, 0x1fffff0, v20
	v_add_co_ci_u32_e32 v115, vcc_lo, v12, v112, vcc_lo
	v_add_co_u32 v116, vcc_lo, v9, v101
	v_lshlrev_b64 v[17:18], 4, v[4:5]
	v_add_co_ci_u32_e32 v117, vcc_lo, v10, v112, vcc_lo
	v_dual_mov_b32 v9, 0 :: v_dual_lshlrev_b32 v118, 6, v1
	v_mov_b32_e32 v10, 0
	v_ashrrev_i32_e32 v100, 5, v3
	v_and_b32_e32 v3, 1, v54
	v_dual_mov_b32 v65, v55 :: v_dual_lshlrev_b32 v102, 3, v1
	v_add_co_u32 v5, vcc_lo, v114, v25
	v_add_co_ci_u32_e32 v6, vcc_lo, v115, v26, vcc_lo
	s_ashr_i32 s4, s1, 3
	s_waitcnt vmcnt(1) lgkmcnt(1)
	v_add_co_u32 v119, vcc_lo, v38, v17
	s_ashr_i32 s13, s1, 7
	v_cmp_ne_u64_e64 s1, 0, v[50:51]
	s_waitcnt vmcnt(0) lgkmcnt(0)
	v_cmp_ne_u64_e64 s2, 0, v[13:14]
	v_cmp_eq_u32_e64 s6, 1, v3
	v_cmp_ne_u64_e64 s7, 0, v[36:37]
	v_lshlrev_b64 v[68:69], 4, v[1:2]
	v_mov_b32_e32 v2, v9
	s_and_b32 s15, s4, -16
	v_cmp_ne_u32_e64 s3, 32, v1
	v_cmp_ne_u32_e64 s4, v0, v1
	v_ashrrev_i32_e32 v103, 31, v100
	v_ashrrev_i32_e32 v113, 31, v102
	v_add_co_ci_u32_e32 v128, vcc_lo, v39, v18, vcc_lo
	v_mov_b32_e32 v129, 1
	v_mov_b32_e32 v3, v10
	s_cmp_gt_i32 s14, 2
	s_mov_b32 s16, 0
	s_cselect_b32 s17, -1, 0
.LBB0_32:                               ; =>This Loop Header: Depth=1
                                        ;     Child Loop BB0_39 Depth 2
                                        ;     Child Loop BB0_59 Depth 2
	;; [unrolled: 1-line block ×5, first 2 shown]
                                        ;       Child Loop BB0_92 Depth 3
                                        ;       Child Loop BB0_112 Depth 3
	;; [unrolled: 1-line block ×3, first 2 shown]
                                        ;         Child Loop BB0_138 Depth 4
                                        ;       Child Loop BB0_508 Depth 3
                                        ;       Child Loop BB0_525 Depth 3
                                        ;     Child Loop BB0_530 Depth 2
                                        ;       Child Loop BB0_538 Depth 3
                                        ;     Child Loop BB0_928 Depth 2
	s_waitcnt vmcnt(0) lgkmcnt(0)
	flat_load_b32 v19, v[66:67]
	v_sub_co_u32 v17, vcc_lo, v7, v9
	v_sub_co_ci_u32_e32 v18, vcc_lo, v8, v10, vcc_lo
	s_delay_alu instid0(VALU_DEP_1) | instskip(SKIP_1) | instid1(VALU_DEP_1)
	v_cmp_lt_u64_e32 vcc_lo, v[64:65], v[17:18]
	v_cndmask_b32_e32 v20, v17, v64, vcc_lo
	v_lshl_add_u32 v17, v20, 1, 14
	s_delay_alu instid0(VALU_DEP_1)
	v_and_b32_e32 v132, 0x7fffff0, v17
	s_and_saveexec_b32 s8, s1
	s_cbranch_execz .LBB0_50
; %bb.33:                               ;   in Loop: Header=BB0_32 Depth=1
	v_add_co_u32 v17, vcc_lo, v15, 1
	v_add_co_ci_u32_e32 v18, vcc_lo, 0, v16, vcc_lo
	v_add_co_u32 v70, vcc_lo, v52, 8
	v_add_co_ci_u32_e32 v71, vcc_lo, 0, v53, vcc_lo
	s_mov_b32 s9, exec_lo
	s_delay_alu instid0(VALU_DEP_1)
	v_cmpx_lt_u64_e64 v[70:71], v[17:18]
	s_cbranch_execz .LBB0_47
; %bb.34:                               ;   in Loop: Header=BB0_32 Depth=1
	s_sleep 1
	flat_load_b64 v[52:53], v[50:51] glc
	v_cmp_eq_u32_e32 vcc_lo, 0, v130
	s_and_saveexec_b32 s10, vcc_lo
	s_cbranch_execz .LBB0_46
; %bb.35:                               ;   in Loop: Header=BB0_32 Depth=1
	v_cndmask_b32_e64 v16, 0, 1, vcc_lo
	s_mov_b32 s18, 0
                                        ; implicit-def: $sgpr19
	s_branch .LBB0_39
.LBB0_36:                               ;   in Loop: Header=BB0_39 Depth=2
	s_or_b32 exec_lo, exec_lo, s22
	s_delay_alu instid0(SALU_CYCLE_1)
	s_or_not1_b32 s22, s23, exec_lo
.LBB0_37:                               ;   in Loop: Header=BB0_39 Depth=2
	s_or_b32 exec_lo, exec_lo, s21
	s_xor_b32 s21, s22, -1
	s_and_not1_b32 s19, s19, exec_lo
	s_and_b32 s21, s21, exec_lo
	s_delay_alu instid0(SALU_CYCLE_1)
	s_or_b32 s19, s19, s21
.LBB0_38:                               ;   in Loop: Header=BB0_39 Depth=2
	s_or_b32 exec_lo, exec_lo, s20
	s_delay_alu instid0(SALU_CYCLE_1) | instskip(NEXT) | instid1(SALU_CYCLE_1)
	s_and_b32 s20, exec_lo, s19
	s_or_b32 s18, s20, s18
	s_delay_alu instid0(SALU_CYCLE_1)
	s_and_not1_b32 exec_lo, exec_lo, s18
	s_cbranch_execz .LBB0_45
.LBB0_39:                               ;   Parent Loop BB0_32 Depth=1
                                        ; =>  This Inner Loop Header: Depth=2
	s_waitcnt vmcnt(0) lgkmcnt(0)
	v_add_co_u32 v70, vcc_lo, v52, 8
	v_add_co_ci_u32_e32 v71, vcc_lo, 0, v53, vcc_lo
	v_mov_b32_e32 v130, 0
	s_or_b32 s19, s19, exec_lo
	s_mov_b32 s20, exec_lo
	s_delay_alu instid0(VALU_DEP_2)
	v_cmpx_lt_u64_e64 v[70:71], v[17:18]
	s_cbranch_execz .LBB0_38
; %bb.40:                               ;   in Loop: Header=BB0_39 Depth=2
	s_sleep 1
	flat_load_b64 v[52:53], v[50:51] glc
	v_add_nc_u32_e32 v16, 1, v16
	v_mov_b32_e32 v130, 0
	s_mov_b32 s22, -1
	s_mov_b32 s21, exec_lo
	s_delay_alu instid0(VALU_DEP_2)
	v_cmpx_eq_u32_e32 0x2710, v16
	s_cbranch_execz .LBB0_37
; %bb.41:                               ;   in Loop: Header=BB0_39 Depth=2
	s_cbranch_execnz .LBB0_963
; %bb.42:                               ;   in Loop: Header=BB0_39 Depth=2
	ds_load_b64 v[70:71], v0
	v_mov_b32_e32 v16, 0
	v_mov_b32_e32 v130, 0
	s_mov_b32 s23, -1
	s_mov_b32 s22, exec_lo
	s_waitcnt vmcnt(0) lgkmcnt(0)
	s_waitcnt_vscnt null, 0x0
	flat_load_b32 v54, v[70:71] glc
	s_waitcnt vmcnt(0) lgkmcnt(0)
	buffer_gl1_inv
	buffer_gl0_inv
	v_cmpx_ne_u32_e32 0, v54
	s_cbranch_execz .LBB0_36
; %bb.43:                               ;   in Loop: Header=BB0_39 Depth=2
	ds_store_b32 v0, v54
	s_cbranch_execnz .LBB0_988
; %bb.44:                               ;   in Loop: Header=BB0_39 Depth=2
	v_mov_b32_e32 v130, 1
	s_xor_b32 s23, exec_lo, -1
	s_branch .LBB0_36
.LBB0_45:                               ;   in Loop: Header=BB0_32 Depth=1
	s_or_b32 exec_lo, exec_lo, s18
.LBB0_46:                               ;   in Loop: Header=BB0_32 Depth=1
	s_delay_alu instid0(SALU_CYCLE_1)
	s_or_b32 exec_lo, exec_lo, s10
.LBB0_47:                               ;   in Loop: Header=BB0_32 Depth=1
	s_delay_alu instid0(SALU_CYCLE_1)
	s_or_b32 exec_lo, exec_lo, s9
	s_and_saveexec_b32 s9, s2
	s_cbranch_execz .LBB0_49
; %bb.48:                               ;   in Loop: Header=BB0_32 Depth=1
	v_and_b32_e32 v54, 0x7ffffff8, v15
	v_and_b32_e32 v16, 7, v15
	s_delay_alu instid0(VALU_DEP_2) | instskip(NEXT) | instid1(VALU_DEP_2)
	v_cmp_eq_u64_e32 vcc_lo, 0x7ffffff8, v[54:55]
	v_mad_u64_u32 v[70:71], null, v16, 24, v[13:14]
	v_cndmask_b32_e64 v15, v132, s15, vcc_lo
	s_delay_alu instid0(VALU_DEP_1)
	v_ashrrev_i32_e32 v16, 31, v15
	flat_store_b64 v[70:71], v[15:16] offset:8 dlc
	s_waitcnt_vscnt null, 0x0
.LBB0_49:                               ;   in Loop: Header=BB0_32 Depth=1
	s_or_b32 exec_lo, exec_lo, s9
	v_dual_mov_b32 v15, v17 :: v_dual_mov_b32 v16, v18
.LBB0_50:                               ;   in Loop: Header=BB0_32 Depth=1
	s_or_b32 exec_lo, exec_lo, s8
	s_and_saveexec_b32 s8, s3
	s_cbranch_execz .LBB0_72
; %bb.51:                               ;   in Loop: Header=BB0_32 Depth=1
	s_and_saveexec_b32 s9, s4
	s_delay_alu instid0(SALU_CYCLE_1)
	s_xor_b32 s9, exec_lo, s9
	s_cbranch_execz .LBB0_69
; %bb.52:                               ;   in Loop: Header=BB0_32 Depth=1
	s_and_saveexec_b32 s10, s5
	s_cbranch_execz .LBB0_68
; %bb.53:                               ;   in Loop: Header=BB0_32 Depth=1
	s_mov_b32 s19, exec_lo
	s_mov_b32 s18, exec_lo
	v_mbcnt_lo_u32_b32 v17, s19, 0
	s_waitcnt vmcnt(0) lgkmcnt(0)
	s_waitcnt_vscnt null, 0x0
	buffer_gl1_inv
	buffer_gl0_inv
	v_cmpx_eq_u32_e32 0, v17
	s_cbranch_execz .LBB0_55
; %bb.54:                               ;   in Loop: Header=BB0_32 Depth=1
	s_bcnt1_i32_b32 s19, s19
	s_delay_alu instid0(SALU_CYCLE_1)
	v_mov_b32_e32 v54, s19
	ds_add_u64 v0, v[54:55]
	s_cbranch_execnz .LBB0_982
.LBB0_55:                               ;   in Loop: Header=BB0_32 Depth=1
	s_or_b32 exec_lo, exec_lo, s18
	s_cbranch_execnz .LBB0_969
; %bb.56:                               ;   in Loop: Header=BB0_32 Depth=1
	ds_load_b64 v[17:18], v0
	v_add_co_u32 v2, vcc_lo, v2, v100
	v_add_co_ci_u32_e32 v3, vcc_lo, v3, v103, vcc_lo
	s_mov_b32 s18, exec_lo
	s_waitcnt lgkmcnt(0)
	s_delay_alu instid0(VALU_DEP_1)
	v_cmpx_lt_u64_e64 v[17:18], v[2:3]
	s_cbranch_execz .LBB0_67
; %bb.57:                               ;   in Loop: Header=BB0_32 Depth=1
	s_mov_b32 s19, 0
	s_mov_b32 s22, 0
                                        ; implicit-def: $sgpr20
                                        ; implicit-def: $sgpr21
	s_branch .LBB0_59
.LBB0_58:                               ;   in Loop: Header=BB0_59 Depth=2
	s_or_b32 exec_lo, exec_lo, s25
	s_delay_alu instid0(SALU_CYCLE_1) | instskip(NEXT) | instid1(SALU_CYCLE_1)
	s_and_b32 s23, exec_lo, s24
	s_or_b32 s19, s23, s19
	s_and_not1_b32 s20, s20, exec_lo
	s_and_b32 s23, s21, exec_lo
	s_delay_alu instid0(SALU_CYCLE_1)
	s_or_b32 s20, s20, s23
	s_and_not1_b32 exec_lo, exec_lo, s19
	s_cbranch_execz .LBB0_65
.LBB0_59:                               ;   Parent Loop BB0_32 Depth=1
                                        ; =>  This Inner Loop Header: Depth=2
	s_add_i32 s22, s22, 1
                                        ; implicit-def: $sgpr24
	s_delay_alu instid0(SALU_CYCLE_1) | instskip(SKIP_1) | instid1(SALU_CYCLE_1)
	s_cmpk_lg_i32 s22, 0x2710
	s_cselect_b32 s23, -1, 0
	s_and_b32 vcc_lo, exec_lo, s23
	s_cbranch_vccz .LBB0_63
.LBB0_60:                               ;   in Loop: Header=BB0_59 Depth=2
	s_and_not1_b32 s21, s21, exec_lo
	s_and_b32 s25, s24, exec_lo
	s_mov_b32 s24, -1
	s_or_b32 s21, s21, s25
	s_and_saveexec_b32 s25, s23
	s_cbranch_execz .LBB0_58
; %bb.61:                               ;   in Loop: Header=BB0_59 Depth=2
	s_sleep 1
	s_cbranch_execnz .LBB0_996
; %bb.62:                               ;   in Loop: Header=BB0_59 Depth=2
	ds_load_b64 v[17:18], v0
	s_and_not1_b32 s21, s21, exec_lo
	s_waitcnt lgkmcnt(0)
	v_cmp_ge_u64_e32 vcc_lo, v[17:18], v[2:3]
	s_or_not1_b32 s24, vcc_lo, exec_lo
	s_branch .LBB0_58
.LBB0_63:                               ;   in Loop: Header=BB0_59 Depth=2
	s_cbranch_execnz .LBB0_1004
; %bb.64:                               ;   in Loop: Header=BB0_59 Depth=2
	ds_load_b64 v[17:18], v0
	s_and_not1_b32 s23, s23, exec_lo
	s_mov_b32 s22, 0
	s_mov_b32 s24, -1
	s_waitcnt lgkmcnt(0)
	flat_load_b32 v17, v[17:18] glc
	s_waitcnt vmcnt(0) lgkmcnt(0)
	buffer_gl1_inv
	buffer_gl0_inv
	v_cmp_eq_u32_e32 vcc_lo, 0, v17
	s_and_b32 s25, vcc_lo, exec_lo
	s_delay_alu instid0(SALU_CYCLE_1)
	s_or_b32 s23, s23, s25
	s_branch .LBB0_60
.LBB0_65:                               ;   in Loop: Header=BB0_32 Depth=1
	s_or_b32 exec_lo, exec_lo, s19
	s_and_saveexec_b32 s19, s20
	s_delay_alu instid0(SALU_CYCLE_1)
	s_xor_b32 s19, exec_lo, s19
	s_cbranch_execz .LBB0_67
; %bb.66:                               ;   in Loop: Header=BB0_32 Depth=1
	ds_store_b32 v0, v129
	s_cbranch_execnz .LBB0_1029
.LBB0_67:                               ;   in Loop: Header=BB0_32 Depth=1
	s_or_b32 exec_lo, exec_lo, s18
	;;#ASMSTART
	s_wakeup
	;;#ASMEND
.LBB0_68:                               ;   in Loop: Header=BB0_32 Depth=1
	s_or_b32 exec_lo, exec_lo, s10
.LBB0_69:                               ;   in Loop: Header=BB0_32 Depth=1
	s_and_not1_saveexec_b32 s9, s9
	s_cbranch_execz .LBB0_71
; %bb.70:                               ;   in Loop: Header=BB0_32 Depth=1
	s_waitcnt vmcnt(0) lgkmcnt(0)
	s_waitcnt_vscnt null, 0x0
	buffer_gl1_inv
	buffer_gl0_inv
	s_barrier
.LBB0_71:                               ;   in Loop: Header=BB0_32 Depth=1
	s_or_b32 exec_lo, exec_lo, s9
.LBB0_72:                               ;   in Loop: Header=BB0_32 Depth=1
	s_delay_alu instid0(SALU_CYCLE_1) | instskip(SKIP_2) | instid1(VALU_DEP_2)
	s_or_b32 exec_lo, exec_lo, s8
	v_sub_nc_u32_e32 v131, v20, v101
	v_mov_b32_e32 v70, v4
	v_cmp_lt_i32_e64 s8, 0, v131
	s_delay_alu instid0(VALU_DEP_1)
	s_and_saveexec_b32 s10, s8
	s_cbranch_execz .LBB0_80
; %bb.73:                               ;   in Loop: Header=BB0_32 Depth=1
	v_dual_mov_b32 v70, v21 :: v_dual_and_b32 v17, 7, v21
	s_waitcnt vmcnt(0) lgkmcnt(0)
	v_ashrrev_i32_e32 v20, 31, v19
	v_mad_u64_u32 v[80:81], null, v98, v19, v[5:6]
	s_delay_alu instid0(VALU_DEP_3) | instskip(SKIP_1) | instid1(VALU_DEP_4)
	v_mul_lo_u32 v17, v17, s13
	v_mul_lo_u32 v82, v99, v19
	;; [unrolled: 1-line block ×4, first 2 shown]
	v_add_co_u32 v71, vcc_lo, 0, 0
	v_mov_b32_e32 v54, v131
	s_mov_b32 s18, 0
	v_ashrrev_i32_e32 v18, 31, v17
	v_add3_u32 v81, v82, v81, v84
	v_add_lshl_u32 v86, v5, v83, 3
	s_delay_alu instid0(VALU_DEP_3) | instskip(SKIP_2) | instid1(VALU_DEP_3)
	v_lshlrev_b64 v[19:20], 4, v[17:18]
	v_add_co_ci_u32_e32 v18, vcc_lo, 1, v70, vcc_lo
	v_mov_b32_e32 v70, v4
	v_add_co_u32 v82, vcc_lo, v119, v19
	s_delay_alu instid0(VALU_DEP_4)
	v_add_co_ci_u32_e32 v83, vcc_lo, v128, v20, vcc_lo
	s_set_inst_prefetch_distance 0x1
	s_branch .LBB0_75
	.p2align	6
.LBB0_74:                               ;   in Loop: Header=BB0_75 Depth=2
	s_or_b32 exec_lo, exec_lo, s9
	s_waitcnt vmcnt(0) lgkmcnt(0)
	v_alignbit_b32 v17, v96, v17, v86
	v_alignbit_b32 v19, v87, v96, v86
	v_mov_b32_e32 v20, v18
	v_sub_nc_u32_e32 v54, v54, v102
	v_add_co_u32 v80, vcc_lo, v80, v102
	v_or_b32_e32 v17, v71, v17
	v_or_b32_e32 v19, v71, v19
	v_add_co_ci_u32_e32 v81, vcc_lo, v81, v113, vcc_lo
	v_cmp_gt_i32_e32 vcc_lo, 1, v54
	v_add_nc_u32_e32 v70, v70, v1
	global_store_b128 v[82:83], v[17:20], off
	v_add_co_u32 v82, s9, v82, v68
	v_add_nc_u32_e32 v86, v86, v118
	v_add_co_ci_u32_e64 v83, s9, v83, v69, s9
	s_or_b32 s18, vcc_lo, s18
	s_delay_alu instid0(SALU_CYCLE_1)
	s_and_not1_b32 exec_lo, exec_lo, s18
	s_cbranch_execz .LBB0_79
.LBB0_75:                               ;   Parent Loop BB0_32 Depth=1
                                        ; =>  This Inner Loop Header: Depth=2
	v_dual_mov_b32 v20, v81 :: v_dual_and_b32 v19, -4, v80
	v_min_u32_e32 v84, 8, v54
	v_dual_mov_b32 v96, 0 :: v_dual_and_b32 v85, 3, v80
	v_mov_b32_e32 v87, 0
	flat_load_b32 v17, v[19:20] glc
	v_add_co_u32 v84, s9, v85, v84
	s_delay_alu instid0(VALU_DEP_1) | instskip(SKIP_1) | instid1(VALU_DEP_1)
	v_add_co_ci_u32_e64 v85, null, 0, 0, s9
	s_mov_b32 s9, exec_lo
	v_cmpx_lt_u64_e32 4, v[84:85]
	s_cbranch_execz .LBB0_77
; %bb.76:                               ;   in Loop: Header=BB0_75 Depth=2
	flat_load_b32 v96, v[19:20] offset:4 glc
.LBB0_77:                               ;   in Loop: Header=BB0_75 Depth=2
	s_or_b32 exec_lo, exec_lo, s9
	s_delay_alu instid0(SALU_CYCLE_1)
	s_mov_b32 s9, exec_lo
	v_cmpx_lt_u64_e32 8, v[84:85]
	s_cbranch_execz .LBB0_74
; %bb.78:                               ;   in Loop: Header=BB0_75 Depth=2
	flat_load_b32 v87, v[19:20] offset:8 glc
	s_branch .LBB0_74
.LBB0_79:                               ;   in Loop: Header=BB0_32 Depth=1
	s_set_inst_prefetch_distance 0x2
	s_or_b32 exec_lo, exec_lo, s18
.LBB0_80:                               ;   in Loop: Header=BB0_32 Depth=1
	s_delay_alu instid0(SALU_CYCLE_1) | instskip(SKIP_2) | instid1(VALU_DEP_2)
	s_or_b32 exec_lo, exec_lo, s10
	v_and_b32_e32 v54, 0x7ffffff8, v21
	v_cmp_gt_i32_e64 s9, s13, v70
	v_cmp_eq_u64_e32 vcc_lo, 0x7ffffff8, v[54:55]
	s_delay_alu instid0(VALU_DEP_2) | instskip(NEXT) | instid1(SALU_CYCLE_1)
	s_and_b32 s9, vcc_lo, s9
	s_and_saveexec_b32 s10, s9
	s_cbranch_execz .LBB0_83
; %bb.81:                               ;   in Loop: Header=BB0_32 Depth=1
	v_dual_mov_b32 v54, v21 :: v_dual_and_b32 v17, 7, v21
	v_ashrrev_i32_e32 v71, 31, v70
	s_mov_b32 s18, 0
	s_delay_alu instid0(VALU_DEP_2) | instskip(SKIP_1) | instid1(VALU_DEP_2)
	v_mul_lo_u32 v17, v17, s13
	s_waitcnt vmcnt(0) lgkmcnt(0)
	v_lshlrev_b64 v[19:20], 4, v[70:71]
	s_delay_alu instid0(VALU_DEP_2) | instskip(NEXT) | instid1(VALU_DEP_1)
	v_ashrrev_i32_e32 v18, 31, v17
	v_lshlrev_b64 v[17:18], 4, v[17:18]
	s_delay_alu instid0(VALU_DEP_1) | instskip(NEXT) | instid1(VALU_DEP_2)
	v_add_co_u32 v19, vcc_lo, v19, v17
	v_add_co_ci_u32_e32 v20, vcc_lo, v20, v18, vcc_lo
	v_add_co_u32 v17, vcc_lo, 0, 0
	v_add_co_ci_u32_e32 v18, vcc_lo, 1, v54, vcc_lo
	s_delay_alu instid0(VALU_DEP_4) | instskip(NEXT) | instid1(VALU_DEP_4)
	v_add_co_u32 v80, vcc_lo, v38, v19
	v_add_co_ci_u32_e32 v81, vcc_lo, v39, v20, vcc_lo
.LBB0_82:                               ;   Parent Loop BB0_32 Depth=1
                                        ; =>  This Inner Loop Header: Depth=2
	s_delay_alu instid0(VALU_DEP_4) | instskip(NEXT) | instid1(VALU_DEP_4)
	v_dual_mov_b32 v19, v17 :: v_dual_add_nc_u32 v70, v70, v1
	v_mov_b32_e32 v20, v18
	s_delay_alu instid0(VALU_DEP_2) | instskip(SKIP_2) | instid1(VALU_DEP_1)
	v_cmp_le_i32_e32 vcc_lo, s13, v70
	global_store_b128 v[80:81], v[17:20], off
	v_add_co_u32 v80, s9, v80, v68
	v_add_co_ci_u32_e64 v81, s9, v81, v69, s9
	s_or_b32 s18, vcc_lo, s18
	s_delay_alu instid0(SALU_CYCLE_1)
	s_and_not1_b32 exec_lo, exec_lo, s18
	s_cbranch_execnz .LBB0_82
.LBB0_83:                               ;   in Loop: Header=BB0_32 Depth=1
	s_or_b32 exec_lo, exec_lo, s10
	v_add_co_u32 v133, vcc_lo, v9, v25
	v_add_co_ci_u32_e32 v134, vcc_lo, v10, v26, vcc_lo
	v_add_co_u32 v70, vcc_lo, v21, 1
	v_add_co_ci_u32_e32 v71, vcc_lo, 0, v22, vcc_lo
	s_and_not1_b32 vcc_lo, exec_lo, s17
	s_cbranch_vccnz .LBB0_527
; %bb.84:                               ;   in Loop: Header=BB0_32 Depth=1
	v_add_co_u32 v80, vcc_lo, v114, v133
	v_add_co_ci_u32_e32 v81, vcc_lo, v115, v134, vcc_lo
	v_add_nc_u16 v135, v21, 1
	s_mov_b32 s18, 2
.LBB0_85:                               ;   Parent Loop BB0_32 Depth=1
                                        ; =>  This Loop Header: Depth=2
                                        ;       Child Loop BB0_92 Depth 3
                                        ;       Child Loop BB0_112 Depth 3
	;; [unrolled: 1-line block ×3, first 2 shown]
                                        ;         Child Loop BB0_138 Depth 4
                                        ;       Child Loop BB0_508 Depth 3
                                        ;       Child Loop BB0_525 Depth 3
	s_delay_alu instid0(SALU_CYCLE_1) | instskip(NEXT) | instid1(SALU_CYCLE_1)
	s_sub_i32 s20, s14, s18
	s_ashr_i32 s21, s20, 31
	s_delay_alu instid0(SALU_CYCLE_1) | instskip(NEXT) | instid1(SALU_CYCLE_1)
	s_lshl_b64 s[20:21], s[20:21], 2
	v_add_co_u32 v17, vcc_lo, v23, s20
	v_add_co_ci_u32_e32 v18, vcc_lo, s21, v24, vcc_lo
	s_waitcnt vmcnt(0) lgkmcnt(0)
	flat_load_b32 v19, v[17:18]
	s_and_saveexec_b32 s9, s1
	s_cbranch_execz .LBB0_103
; %bb.86:                               ;   in Loop: Header=BB0_85 Depth=2
	v_add_co_u32 v17, vcc_lo, v15, 1
	v_add_co_ci_u32_e32 v18, vcc_lo, 0, v16, vcc_lo
	v_add_co_u32 v20, vcc_lo, v52, 8
	v_add_co_ci_u32_e32 v21, vcc_lo, 0, v53, vcc_lo
	s_mov_b32 s10, exec_lo
	s_delay_alu instid0(VALU_DEP_1)
	v_cmpx_lt_u64_e64 v[20:21], v[17:18]
	s_cbranch_execz .LBB0_100
; %bb.87:                               ;   in Loop: Header=BB0_85 Depth=2
	s_sleep 1
	flat_load_b64 v[52:53], v[50:51] glc
	v_cmp_eq_u32_e32 vcc_lo, 0, v130
	s_and_saveexec_b32 s19, vcc_lo
	s_cbranch_execz .LBB0_99
; %bb.88:                               ;   in Loop: Header=BB0_85 Depth=2
	v_cndmask_b32_e64 v16, 0, 1, vcc_lo
	s_mov_b32 s20, 0
                                        ; implicit-def: $sgpr21
	s_branch .LBB0_92
.LBB0_89:                               ;   in Loop: Header=BB0_92 Depth=3
	s_or_b32 exec_lo, exec_lo, s24
	s_delay_alu instid0(SALU_CYCLE_1)
	s_or_not1_b32 s24, s25, exec_lo
.LBB0_90:                               ;   in Loop: Header=BB0_92 Depth=3
	s_or_b32 exec_lo, exec_lo, s23
	s_xor_b32 s23, s24, -1
	s_and_not1_b32 s21, s21, exec_lo
	s_and_b32 s23, s23, exec_lo
	s_delay_alu instid0(SALU_CYCLE_1)
	s_or_b32 s21, s21, s23
.LBB0_91:                               ;   in Loop: Header=BB0_92 Depth=3
	s_or_b32 exec_lo, exec_lo, s22
	s_delay_alu instid0(SALU_CYCLE_1) | instskip(NEXT) | instid1(SALU_CYCLE_1)
	s_and_b32 s22, exec_lo, s21
	s_or_b32 s20, s22, s20
	s_delay_alu instid0(SALU_CYCLE_1)
	s_and_not1_b32 exec_lo, exec_lo, s20
	s_cbranch_execz .LBB0_98
.LBB0_92:                               ;   Parent Loop BB0_32 Depth=1
                                        ;     Parent Loop BB0_85 Depth=2
                                        ; =>    This Inner Loop Header: Depth=3
	s_waitcnt vmcnt(0) lgkmcnt(0)
	v_add_co_u32 v20, vcc_lo, v52, 8
	v_add_co_ci_u32_e32 v21, vcc_lo, 0, v53, vcc_lo
	v_mov_b32_e32 v130, 0
	s_or_b32 s21, s21, exec_lo
	s_mov_b32 s22, exec_lo
	s_delay_alu instid0(VALU_DEP_2)
	v_cmpx_lt_u64_e64 v[20:21], v[17:18]
	s_cbranch_execz .LBB0_91
; %bb.93:                               ;   in Loop: Header=BB0_92 Depth=3
	s_sleep 1
	flat_load_b64 v[52:53], v[50:51] glc
	v_add_nc_u32_e32 v16, 1, v16
	v_mov_b32_e32 v130, 0
	s_mov_b32 s24, -1
	s_mov_b32 s23, exec_lo
	s_delay_alu instid0(VALU_DEP_2)
	v_cmpx_eq_u32_e32 0x2710, v16
	s_cbranch_execz .LBB0_90
; %bb.94:                               ;   in Loop: Header=BB0_92 Depth=3
	s_cbranch_execnz .LBB0_965
; %bb.95:                               ;   in Loop: Header=BB0_92 Depth=3
	ds_load_b64 v[20:21], v0
	v_mov_b32_e32 v16, 0
	v_mov_b32_e32 v130, 0
	s_mov_b32 s25, -1
	s_mov_b32 s24, exec_lo
	s_waitcnt vmcnt(0) lgkmcnt(0)
	s_waitcnt_vscnt null, 0x0
	flat_load_b32 v20, v[20:21] glc
	s_waitcnt vmcnt(0) lgkmcnt(0)
	buffer_gl1_inv
	buffer_gl0_inv
	v_cmpx_ne_u32_e32 0, v20
	s_cbranch_execz .LBB0_89
; %bb.96:                               ;   in Loop: Header=BB0_92 Depth=3
	ds_store_b32 v0, v20
	s_cbranch_execnz .LBB0_992
; %bb.97:                               ;   in Loop: Header=BB0_92 Depth=3
	v_mov_b32_e32 v130, 1
	s_xor_b32 s25, exec_lo, -1
	s_branch .LBB0_89
.LBB0_98:                               ;   in Loop: Header=BB0_85 Depth=2
	s_or_b32 exec_lo, exec_lo, s20
.LBB0_99:                               ;   in Loop: Header=BB0_85 Depth=2
	s_delay_alu instid0(SALU_CYCLE_1)
	s_or_b32 exec_lo, exec_lo, s19
.LBB0_100:                              ;   in Loop: Header=BB0_85 Depth=2
	s_delay_alu instid0(SALU_CYCLE_1)
	s_or_b32 exec_lo, exec_lo, s10
	s_and_saveexec_b32 s10, s2
	s_cbranch_execz .LBB0_102
; %bb.101:                              ;   in Loop: Header=BB0_85 Depth=2
	v_and_b32_e32 v54, 0x7ffffff8, v15
	v_and_b32_e32 v16, 7, v15
	s_delay_alu instid0(VALU_DEP_2) | instskip(NEXT) | instid1(VALU_DEP_2)
	v_cmp_eq_u64_e32 vcc_lo, 0x7ffffff8, v[54:55]
	v_mad_u64_u32 v[20:21], null, v16, 24, v[13:14]
	v_cndmask_b32_e64 v15, v132, s15, vcc_lo
	s_delay_alu instid0(VALU_DEP_1)
	v_ashrrev_i32_e32 v16, 31, v15
	flat_store_b64 v[20:21], v[15:16] offset:8 dlc
	s_waitcnt_vscnt null, 0x0
.LBB0_102:                              ;   in Loop: Header=BB0_85 Depth=2
	s_or_b32 exec_lo, exec_lo, s10
	v_dual_mov_b32 v15, v17 :: v_dual_mov_b32 v16, v18
.LBB0_103:                              ;   in Loop: Header=BB0_85 Depth=2
	s_or_b32 exec_lo, exec_lo, s9
	s_and_saveexec_b32 s9, s3
	s_cbranch_execz .LBB0_125
; %bb.104:                              ;   in Loop: Header=BB0_85 Depth=2
	s_and_saveexec_b32 s10, s4
	s_delay_alu instid0(SALU_CYCLE_1)
	s_xor_b32 s10, exec_lo, s10
	s_cbranch_execz .LBB0_122
; %bb.105:                              ;   in Loop: Header=BB0_85 Depth=2
	s_and_saveexec_b32 s19, s5
	s_cbranch_execz .LBB0_121
; %bb.106:                              ;   in Loop: Header=BB0_85 Depth=2
	s_mov_b32 s21, exec_lo
	s_mov_b32 s20, exec_lo
	v_mbcnt_lo_u32_b32 v17, s21, 0
	s_waitcnt vmcnt(0) lgkmcnt(0)
	s_waitcnt_vscnt null, 0x0
	buffer_gl1_inv
	buffer_gl0_inv
	v_cmpx_eq_u32_e32 0, v17
	s_cbranch_execz .LBB0_108
; %bb.107:                              ;   in Loop: Header=BB0_85 Depth=2
	s_bcnt1_i32_b32 s21, s21
	s_delay_alu instid0(SALU_CYCLE_1)
	v_mov_b32_e32 v54, s21
	ds_add_u64 v0, v[54:55]
	s_cbranch_execnz .LBB0_990
.LBB0_108:                              ;   in Loop: Header=BB0_85 Depth=2
	s_or_b32 exec_lo, exec_lo, s20
	s_cbranch_execnz .LBB0_984
; %bb.109:                              ;   in Loop: Header=BB0_85 Depth=2
	ds_load_b64 v[17:18], v0
	v_add_co_u32 v2, vcc_lo, v2, v100
	v_add_co_ci_u32_e32 v3, vcc_lo, v3, v103, vcc_lo
	s_mov_b32 s20, exec_lo
	s_waitcnt lgkmcnt(0)
	s_delay_alu instid0(VALU_DEP_1)
	v_cmpx_lt_u64_e64 v[17:18], v[2:3]
	s_cbranch_execz .LBB0_120
; %bb.110:                              ;   in Loop: Header=BB0_85 Depth=2
	s_mov_b32 s21, 0
	s_mov_b32 s24, 0
                                        ; implicit-def: $sgpr22
                                        ; implicit-def: $sgpr23
	s_branch .LBB0_112
.LBB0_111:                              ;   in Loop: Header=BB0_112 Depth=3
	s_or_b32 exec_lo, exec_lo, s27
	s_delay_alu instid0(SALU_CYCLE_1) | instskip(NEXT) | instid1(SALU_CYCLE_1)
	s_and_b32 s25, exec_lo, s26
	s_or_b32 s21, s25, s21
	s_and_not1_b32 s22, s22, exec_lo
	s_and_b32 s25, s23, exec_lo
	s_delay_alu instid0(SALU_CYCLE_1)
	s_or_b32 s22, s22, s25
	s_and_not1_b32 exec_lo, exec_lo, s21
	s_cbranch_execz .LBB0_118
.LBB0_112:                              ;   Parent Loop BB0_32 Depth=1
                                        ;     Parent Loop BB0_85 Depth=2
                                        ; =>    This Inner Loop Header: Depth=3
	s_add_i32 s24, s24, 1
                                        ; implicit-def: $sgpr26
	s_delay_alu instid0(SALU_CYCLE_1) | instskip(SKIP_1) | instid1(SALU_CYCLE_1)
	s_cmpk_lg_i32 s24, 0x2710
	s_cselect_b32 s25, -1, 0
	s_and_b32 vcc_lo, exec_lo, s25
	s_cbranch_vccz .LBB0_116
.LBB0_113:                              ;   in Loop: Header=BB0_112 Depth=3
	s_and_not1_b32 s23, s23, exec_lo
	s_and_b32 s27, s26, exec_lo
	s_mov_b32 s26, -1
	s_or_b32 s23, s23, s27
	s_and_saveexec_b32 s27, s25
	s_cbranch_execz .LBB0_111
; %bb.114:                              ;   in Loop: Header=BB0_112 Depth=3
	s_sleep 1
	s_cbranch_execnz .LBB0_1008
; %bb.115:                              ;   in Loop: Header=BB0_112 Depth=3
	ds_load_b64 v[17:18], v0
	s_and_not1_b32 s23, s23, exec_lo
	s_waitcnt lgkmcnt(0)
	v_cmp_ge_u64_e32 vcc_lo, v[17:18], v[2:3]
	s_or_not1_b32 s26, vcc_lo, exec_lo
	s_branch .LBB0_111
.LBB0_116:                              ;   in Loop: Header=BB0_112 Depth=3
	s_cbranch_execnz .LBB0_1012
; %bb.117:                              ;   in Loop: Header=BB0_112 Depth=3
	ds_load_b64 v[17:18], v0
	s_and_not1_b32 s25, s25, exec_lo
	s_mov_b32 s24, 0
	s_mov_b32 s26, -1
	s_waitcnt lgkmcnt(0)
	flat_load_b32 v17, v[17:18] glc
	s_waitcnt vmcnt(0) lgkmcnt(0)
	buffer_gl1_inv
	buffer_gl0_inv
	v_cmp_eq_u32_e32 vcc_lo, 0, v17
	s_and_b32 s27, vcc_lo, exec_lo
	s_delay_alu instid0(SALU_CYCLE_1)
	s_or_b32 s25, s25, s27
	s_branch .LBB0_113
.LBB0_118:                              ;   in Loop: Header=BB0_85 Depth=2
	s_or_b32 exec_lo, exec_lo, s21
	s_and_saveexec_b32 s21, s22
	s_delay_alu instid0(SALU_CYCLE_1)
	s_xor_b32 s21, exec_lo, s21
	s_cbranch_execz .LBB0_120
; %bb.119:                              ;   in Loop: Header=BB0_85 Depth=2
	ds_store_b32 v0, v129
	s_cbranch_execnz .LBB0_1033
.LBB0_120:                              ;   in Loop: Header=BB0_85 Depth=2
	s_or_b32 exec_lo, exec_lo, s20
	;;#ASMSTART
	s_wakeup
	;;#ASMEND
.LBB0_121:                              ;   in Loop: Header=BB0_85 Depth=2
	s_or_b32 exec_lo, exec_lo, s19
.LBB0_122:                              ;   in Loop: Header=BB0_85 Depth=2
	s_and_not1_saveexec_b32 s10, s10
	s_cbranch_execz .LBB0_124
; %bb.123:                              ;   in Loop: Header=BB0_85 Depth=2
	s_waitcnt vmcnt(0) lgkmcnt(0)
	s_waitcnt_vscnt null, 0x0
	buffer_gl1_inv
	buffer_gl0_inv
	s_barrier
.LBB0_124:                              ;   in Loop: Header=BB0_85 Depth=2
	s_or_b32 exec_lo, exec_lo, s10
.LBB0_125:                              ;   in Loop: Header=BB0_85 Depth=2
	s_delay_alu instid0(SALU_CYCLE_1)
	s_or_b32 exec_lo, exec_lo, s9
	v_mov_b32_e32 v82, v4
	s_and_saveexec_b32 s19, s8
	s_cbranch_execz .LBB0_499
; %bb.126:                              ;   in Loop: Header=BB0_85 Depth=2
	v_dual_mov_b32 v82, v70 :: v_dual_and_b32 v17, 7, v32
	v_dual_mov_b32 v149, v131 :: v_dual_and_b32 v18, 7, v70
	s_waitcnt vmcnt(0) lgkmcnt(0)
	v_ashrrev_i32_e32 v21, 31, v19
	s_delay_alu instid0(VALU_DEP_3)
	v_mul_lo_u32 v17, v17, s13
	v_mad_u64_u32 v[84:85], null, v98, v19, v[80:81]
	v_mul_lo_u32 v20, v18, s13
	v_mul_lo_u32 v19, v99, v19
	;; [unrolled: 1-line block ×3, first 2 shown]
	v_add_nc_u32_e32 v54, 1, v32
	s_mov_b32 s20, 0
	v_ashrrev_i32_e32 v18, 31, v17
	v_ashrrev_i32_e32 v21, 31, v20
	s_delay_alu instid0(VALU_DEP_4) | instskip(NEXT) | instid1(VALU_DEP_3)
	v_add3_u32 v85, v19, v85, v22
	v_lshlrev_b64 v[17:18], 4, v[17:18]
	s_delay_alu instid0(VALU_DEP_3) | instskip(NEXT) | instid1(VALU_DEP_2)
	v_lshlrev_b64 v[19:20], 4, v[20:21]
	v_add_co_u32 v144, vcc_lo, v29, v17
	s_delay_alu instid0(VALU_DEP_3) | instskip(NEXT) | instid1(VALU_DEP_3)
	v_add_co_ci_u32_e32 v145, vcc_lo, v30, v18, vcc_lo
	v_add_co_u32 v146, vcc_lo, v38, v19
	s_delay_alu instid0(VALU_DEP_4)
	v_add_co_ci_u32_e32 v147, vcc_lo, v39, v20, vcc_lo
	v_add_co_u32 v148, vcc_lo, 0, 0
	v_add_co_ci_u32_e32 v18, vcc_lo, 1, v82, vcc_lo
	v_mov_b32_e32 v82, v4
	s_branch .LBB0_130
.LBB0_127:                              ;   in Loop: Header=BB0_130 Depth=3
	s_or_b32 exec_lo, exec_lo, s9
	s_delay_alu instid0(VALU_DEP_1) | instskip(NEXT) | instid1(VALU_DEP_2)
	v_lshrrev_b32_e32 v21, 21, v21
	v_min_i32_e32 v97, 31, v20
	v_cmp_gt_i32_e32 vcc_lo, 32, v20
	v_lshrrev_b32_e32 v160, 24, v161
	s_delay_alu instid0(VALU_DEP_3) | instskip(NEXT) | instid1(VALU_DEP_2)
	v_lshlrev_b32_e32 v97, 2, v97
	v_dual_cndmask_b32 v21, 3, v21 :: v_dual_and_b32 v160, 0x80, v160
	s_delay_alu instid0(VALU_DEP_2) | instskip(NEXT) | instid1(VALU_DEP_2)
	v_and_b32_e32 v97, 0xfc, v97
	v_and_b32_e32 v161, 3, v21
	v_or_b32_e32 v20, v20, v21
	s_delay_alu instid0(VALU_DEP_2) | instskip(NEXT) | instid1(VALU_DEP_2)
	v_or3_b32 v97, v160, v97, v161
	v_cmp_ne_u32_e32 vcc_lo, 0, v20
	s_delay_alu instid0(VALU_DEP_2) | instskip(NEXT) | instid1(VALU_DEP_1)
	v_lshlrev_b32_e32 v21, 8, v97
	v_cndmask_b32_e32 v20, 0, v21, vcc_lo
.LBB0_128:                              ;   in Loop: Header=BB0_130 Depth=3
	s_or_b32 exec_lo, exec_lo, s21
.LBB0_129:                              ;   in Loop: Header=BB0_130 Depth=3
	s_delay_alu instid0(SALU_CYCLE_1) | instskip(SKIP_1) | instid1(VALU_DEP_2)
	s_or_b32 exec_lo, exec_lo, s10
	v_lshlrev_b32_e32 v19, 8, v19
	v_or_b32_e32 v20, v20, v151
	v_and_b32_e32 v21, 0xff, v83
	v_lshlrev_b32_e32 v22, 8, v22
	v_add_co_u32 v84, vcc_lo, v84, v102
	v_perm_b32 v19, v19, v150, 0xc0c0500
	v_lshlrev_b32_e32 v20, 16, v20
	v_sub_nc_u32_e32 v149, v149, v102
	v_add_co_ci_u32_e32 v85, vcc_lo, v85, v113, vcc_lo
	v_perm_b32 v17, v22, v17, 0xc0c0500
	s_delay_alu instid0(VALU_DEP_4) | instskip(SKIP_2) | instid1(VALU_DEP_2)
	v_or3_b32 v19, v20, v19, v148
	v_dual_mov_b32 v20, v18 :: v_dual_lshlrev_b32 v21, 16, v21
	v_add_nc_u32_e32 v82, v82, v1
	v_lshl_or_b32 v83, v96, 24, v21
	v_add_co_u32 v21, vcc_lo, v146, v86
	v_add_co_ci_u32_e32 v22, vcc_lo, v147, v87, vcc_lo
	v_cmp_gt_i32_e32 vcc_lo, 1, v149
	s_delay_alu instid0(VALU_DEP_4)
	v_or3_b32 v17, v83, v17, v148
	s_or_b32 s20, vcc_lo, s20
	global_store_b128 v[21:22], v[17:20], off
	s_and_not1_b32 exec_lo, exec_lo, s20
	s_cbranch_execz .LBB0_498
.LBB0_130:                              ;   Parent Loop BB0_32 Depth=1
                                        ;     Parent Loop BB0_85 Depth=2
                                        ; =>    This Loop Header: Depth=3
                                        ;         Child Loop BB0_138 Depth 4
	v_dual_mov_b32 v20, v85 :: v_dual_and_b32 v19, -4, v84
	v_min_u32_e32 v21, 8, v149
	v_dual_mov_b32 v151, 0 :: v_dual_and_b32 v22, 3, v84
	v_mov_b32_e32 v150, 0
	flat_load_b32 v17, v[19:20] glc
	v_add_co_u32 v21, s9, v22, v21
	s_delay_alu instid0(VALU_DEP_1) | instskip(SKIP_1) | instid1(VALU_DEP_1)
	v_add_co_ci_u32_e64 v22, null, 0, 0, s9
	s_mov_b32 s9, exec_lo
	v_cmpx_lt_u64_e32 4, v[21:22]
	s_cbranch_execz .LBB0_132
; %bb.131:                              ;   in Loop: Header=BB0_130 Depth=3
	flat_load_b32 v151, v[19:20] offset:4 glc
.LBB0_132:                              ;   in Loop: Header=BB0_130 Depth=3
	s_or_b32 exec_lo, exec_lo, s9
	s_delay_alu instid0(SALU_CYCLE_1)
	s_mov_b32 s9, exec_lo
	v_cmpx_lt_u64_e32 8, v[21:22]
	s_cbranch_execz .LBB0_134
; %bb.133:                              ;   in Loop: Header=BB0_130 Depth=3
	flat_load_b32 v150, v[19:20] offset:8 glc
.LBB0_134:                              ;   in Loop: Header=BB0_130 Depth=3
	s_or_b32 exec_lo, exec_lo, s9
	v_ashrrev_i32_e32 v83, 31, v82
	s_delay_alu instid0(VALU_DEP_1) | instskip(NEXT) | instid1(VALU_DEP_1)
	v_lshlrev_b64 v[86:87], 4, v[82:83]
	v_add_co_u32 v96, vcc_lo, v144, v86
	s_delay_alu instid0(VALU_DEP_2)
	v_add_co_ci_u32_e32 v97, vcc_lo, v145, v87, vcc_lo
	v_cmp_eq_u32_e32 vcc_lo, 0, v130
	;;#ASMSTART
	global_load_b128 v[19:22], v[96:97], off glc slc dlc
s_waitcnt vmcnt(0)

	;;#ASMEND
	s_and_saveexec_b32 s21, vcc_lo
	s_cbranch_execz .LBB0_148
; %bb.135:                              ;   in Loop: Header=BB0_130 Depth=3
	v_cmp_ne_u32_e64 s9, v54, v20
	v_cmp_ne_u32_e64 s10, v54, v22
	v_mov_b32_e32 v130, 0
	s_delay_alu instid0(VALU_DEP_2) | instskip(NEXT) | instid1(SALU_CYCLE_1)
	s_or_b32 s9, s9, s10
	s_and_saveexec_b32 s10, s9
	s_cbranch_execz .LBB0_147
; %bb.136:                              ;   in Loop: Header=BB0_130 Depth=3
	v_cndmask_b32_e64 v83, 0, 1, vcc_lo
	s_mov_b32 s22, 0
                                        ; implicit-def: $sgpr23
                                        ; implicit-def: $sgpr24
	s_branch .LBB0_138
.LBB0_137:                              ;   in Loop: Header=BB0_138 Depth=4
	s_or_b32 exec_lo, exec_lo, s25
	s_delay_alu instid0(SALU_CYCLE_1) | instskip(NEXT) | instid1(SALU_CYCLE_1)
	s_and_b32 s9, exec_lo, s9
	s_or_b32 s22, s9, s22
	s_and_not1_b32 s9, s23, exec_lo
	s_and_b32 s23, s24, exec_lo
	s_delay_alu instid0(SALU_CYCLE_1)
	s_or_b32 s23, s9, s23
	s_and_not1_b32 exec_lo, exec_lo, s22
	s_cbranch_execz .LBB0_146
.LBB0_138:                              ;   Parent Loop BB0_32 Depth=1
                                        ;     Parent Loop BB0_85 Depth=2
                                        ;       Parent Loop BB0_130 Depth=3
                                        ; =>      This Inner Loop Header: Depth=4
	s_delay_alu instid0(VALU_DEP_1)
	v_dual_mov_b32 v130, 0 :: v_dual_add_nc_u32 v83, 1, v83
	s_mov_b32 s9, -1
	s_mov_b32 s26, -1
	s_mov_b32 s25, exec_lo
	;;#ASMSTART
	global_load_b128 v[19:22], v[96:97], off glc slc dlc
s_waitcnt vmcnt(0)

	;;#ASMEND
	v_cmpx_eq_u32_e32 0x2710, v83
	s_cbranch_execz .LBB0_144
; %bb.139:                              ;   in Loop: Header=BB0_138 Depth=4
	s_cbranch_execnz .LBB0_959
; %bb.140:                              ;   in Loop: Header=BB0_138 Depth=4
	ds_load_b64 v[160:161], v0
	v_dual_mov_b32 v83, 0 :: v_dual_mov_b32 v130, 0
	s_mov_b32 s27, -1
	s_mov_b32 s26, exec_lo
	s_waitcnt vmcnt(0) lgkmcnt(0)
	s_waitcnt_vscnt null, 0x0
	flat_load_b32 v160, v[160:161] glc
	s_waitcnt vmcnt(0) lgkmcnt(0)
	buffer_gl1_inv
	buffer_gl0_inv
	v_cmpx_ne_u32_e32 0, v160
	s_cbranch_execz .LBB0_143
; %bb.141:                              ;   in Loop: Header=BB0_138 Depth=4
	ds_store_b32 v0, v160
	s_cbranch_execnz .LBB0_967
; %bb.142:                              ;   in Loop: Header=BB0_138 Depth=4
	v_mov_b32_e32 v130, 1
	s_xor_b32 s27, exec_lo, -1
.LBB0_143:                              ;   in Loop: Header=BB0_138 Depth=4
	s_or_b32 exec_lo, exec_lo, s26
	s_delay_alu instid0(SALU_CYCLE_1)
	s_or_not1_b32 s26, s27, exec_lo
.LBB0_144:                              ;   in Loop: Header=BB0_138 Depth=4
	s_or_b32 exec_lo, exec_lo, s25
	s_delay_alu instid0(SALU_CYCLE_1)
	s_or_b32 s24, s24, exec_lo
	s_and_saveexec_b32 s25, s26
	s_cbranch_execz .LBB0_137
; %bb.145:                              ;   in Loop: Header=BB0_138 Depth=4
	v_cmp_eq_u32_e32 vcc_lo, v54, v20
	v_cmp_eq_u32_e64 s9, v54, v22
	s_and_not1_b32 s24, s24, exec_lo
	s_delay_alu instid0(VALU_DEP_1) | instskip(NEXT) | instid1(SALU_CYCLE_1)
	s_and_b32 s9, vcc_lo, s9
	s_or_not1_b32 s9, s9, exec_lo
	s_branch .LBB0_137
.LBB0_146:                              ;   in Loop: Header=BB0_130 Depth=3
	s_or_b32 exec_lo, exec_lo, s22
	s_xor_b32 s9, s23, -1
	s_delay_alu instid0(SALU_CYCLE_1) | instskip(NEXT) | instid1(SALU_CYCLE_1)
	s_and_saveexec_b32 s22, s9
	s_xor_b32 s9, exec_lo, s22
	s_delay_alu instid0(SALU_CYCLE_1) | instskip(NEXT) | instid1(SALU_CYCLE_1)
	s_and_not1_saveexec_b32 s9, s9
	s_or_b32 exec_lo, exec_lo, s9
.LBB0_147:                              ;   in Loop: Header=BB0_130 Depth=3
	s_delay_alu instid0(SALU_CYCLE_1)
	s_or_b32 exec_lo, exec_lo, s10
.LBB0_148:                              ;   in Loop: Header=BB0_130 Depth=3
	s_delay_alu instid0(SALU_CYCLE_1) | instskip(SKIP_2) | instid1(VALU_DEP_1)
	s_or_b32 exec_lo, exec_lo, s21
	v_lshlrev_b32_e32 v20, 3, v84
                                        ; implicit-def: $vgpr22
	s_waitcnt vmcnt(0) lgkmcnt(0)
	v_alignbit_b32 v96, v151, v17, v20
	s_and_saveexec_b32 s9, s6
	s_delay_alu instid0(SALU_CYCLE_1)
	s_xor_b32 s9, exec_lo, s9
	s_cbranch_execz .LBB0_158
; %bb.149:                              ;   in Loop: Header=BB0_130 Depth=3
	v_and_b32_e32 v22, 0xff, v19
	s_mov_b32 s10, 0
	s_mov_b32 s22, exec_lo
                                        ; implicit-def: $sgpr21
	s_delay_alu instid0(VALU_DEP_1)
	v_cmpx_lt_i16_e32 0x7f, v22
	s_xor_b32 s22, exec_lo, s22
	s_cbranch_execnz .LBB0_370
; %bb.150:                              ;   in Loop: Header=BB0_130 Depth=3
	s_or_saveexec_b32 s22, s22
	v_mov_b32_e32 v17, s21
	s_xor_b32 exec_lo, exec_lo, s22
	s_cbranch_execnz .LBB0_373
.LBB0_151:                              ;   in Loop: Header=BB0_130 Depth=3
	s_or_b32 exec_lo, exec_lo, s22
	s_and_saveexec_b32 s21, s10
	s_cbranch_execz .LBB0_153
.LBB0_152:                              ;   in Loop: Header=BB0_130 Depth=3
	v_bfe_u32 v97, v19, 2, 5
	v_lshlrev_b32_e32 v160, 24, v19
	s_delay_alu instid0(VALU_DEP_2) | instskip(SKIP_1) | instid1(VALU_DEP_1)
	v_cmp_eq_u32_e32 vcc_lo, 0, v97
	v_and_b32_e32 v17, 3, v19
	v_clz_i32_u32_e32 v22, v17
	s_delay_alu instid0(VALU_DEP_1) | instskip(NEXT) | instid1(VALU_DEP_1)
	v_min_u32_e32 v22, 32, v22
	v_subrev_nc_u32_e32 v83, 29, v22
	v_sub_nc_u32_e32 v22, 30, v22
	s_delay_alu instid0(VALU_DEP_1) | instskip(NEXT) | instid1(VALU_DEP_1)
	v_dual_cndmask_b32 v22, v97, v22 :: v_dual_lshlrev_b32 v83, v83, v19
	v_and_b32_e32 v83, 3, v83
	s_delay_alu instid0(VALU_DEP_2) | instskip(NEXT) | instid1(VALU_DEP_2)
	v_lshl_add_u32 v22, v22, 23, 0x37800000
	v_cndmask_b32_e32 v17, v17, v83, vcc_lo
	v_and_b32_e32 v83, 0x80000000, v160
	s_delay_alu instid0(VALU_DEP_2) | instskip(NEXT) | instid1(VALU_DEP_1)
	v_lshlrev_b32_e32 v17, 21, v17
	v_or3_b32 v17, v83, v22, v17
.LBB0_153:                              ;   in Loop: Header=BB0_130 Depth=3
	s_or_b32 exec_lo, exec_lo, s21
	v_and_b32_e32 v83, 0xff, v96
	s_mov_b32 s10, 0
	s_mov_b32 s22, exec_lo
                                        ; implicit-def: $sgpr21
	s_delay_alu instid0(VALU_DEP_1)
	v_cmpx_lt_i16_e32 0x7f, v83
	s_xor_b32 s22, exec_lo, s22
	s_cbranch_execnz .LBB0_374
; %bb.154:                              ;   in Loop: Header=BB0_130 Depth=3
	s_or_saveexec_b32 s22, s22
	v_mov_b32_e32 v22, s21
	s_xor_b32 exec_lo, exec_lo, s22
	s_cbranch_execnz .LBB0_377
.LBB0_155:                              ;   in Loop: Header=BB0_130 Depth=3
	s_or_b32 exec_lo, exec_lo, s22
	s_and_saveexec_b32 s21, s10
	s_cbranch_execz .LBB0_157
.LBB0_156:                              ;   in Loop: Header=BB0_130 Depth=3
	v_bfe_u32 v160, v96, 2, 5
	s_delay_alu instid0(VALU_DEP_1) | instskip(SKIP_1) | instid1(VALU_DEP_1)
	v_cmp_eq_u32_e32 vcc_lo, 0, v160
	v_and_b32_e32 v22, 3, v96
	v_clz_i32_u32_e32 v83, v22
	s_delay_alu instid0(VALU_DEP_1) | instskip(NEXT) | instid1(VALU_DEP_1)
	v_min_u32_e32 v83, 32, v83
	v_subrev_nc_u32_e32 v97, 29, v83
	v_sub_nc_u32_e32 v83, 30, v83
	s_delay_alu instid0(VALU_DEP_2) | instskip(NEXT) | instid1(VALU_DEP_2)
	v_lshlrev_b32_e32 v97, v97, v96
	v_cndmask_b32_e32 v83, v160, v83, vcc_lo
	s_delay_alu instid0(VALU_DEP_2) | instskip(SKIP_1) | instid1(VALU_DEP_3)
	v_and_b32_e32 v97, 3, v97
	v_lshlrev_b32_e32 v161, 24, v96
	v_lshl_add_u32 v83, v83, 23, 0x37800000
	s_delay_alu instid0(VALU_DEP_3) | instskip(NEXT) | instid1(VALU_DEP_3)
	v_cndmask_b32_e32 v22, v22, v97, vcc_lo
	v_and_b32_e32 v97, 0x80000000, v161
	s_delay_alu instid0(VALU_DEP_2) | instskip(NEXT) | instid1(VALU_DEP_1)
	v_lshlrev_b32_e32 v22, 21, v22
	v_or3_b32 v22, v97, v83, v22
.LBB0_157:                              ;   in Loop: Header=BB0_130 Depth=3
	s_or_b32 exec_lo, exec_lo, s21
	s_delay_alu instid0(VALU_DEP_1) | instskip(NEXT) | instid1(VALU_DEP_1)
	v_dual_max_f32 v22, v22, v22 :: v_dual_max_f32 v17, v17, v17
	v_max_f32_e32 v22, v17, v22
.LBB0_158:                              ;   in Loop: Header=BB0_130 Depth=3
	s_and_not1_saveexec_b32 s9, s9
	s_cbranch_execz .LBB0_168
; %bb.159:                              ;   in Loop: Header=BB0_130 Depth=3
	v_and_b32_e32 v22, 0xff, v19
	s_mov_b32 s10, 0
	s_mov_b32 s22, exec_lo
                                        ; implicit-def: $sgpr21
	s_delay_alu instid0(VALU_DEP_1)
	v_cmpx_lt_i16_e32 0x7f, v22
	s_xor_b32 s22, exec_lo, s22
	s_cbranch_execnz .LBB0_378
; %bb.160:                              ;   in Loop: Header=BB0_130 Depth=3
	s_or_saveexec_b32 s22, s22
	v_mov_b32_e32 v17, s21
	s_xor_b32 exec_lo, exec_lo, s22
	s_cbranch_execnz .LBB0_381
.LBB0_161:                              ;   in Loop: Header=BB0_130 Depth=3
	s_or_b32 exec_lo, exec_lo, s22
	s_and_saveexec_b32 s21, s10
	s_cbranch_execz .LBB0_163
.LBB0_162:                              ;   in Loop: Header=BB0_130 Depth=3
	v_bfe_u32 v97, v19, 2, 5
	v_lshlrev_b32_e32 v160, 24, v19
	s_delay_alu instid0(VALU_DEP_2) | instskip(SKIP_1) | instid1(VALU_DEP_1)
	v_cmp_eq_u32_e32 vcc_lo, 0, v97
	v_and_b32_e32 v17, 3, v19
	v_clz_i32_u32_e32 v22, v17
	s_delay_alu instid0(VALU_DEP_1) | instskip(NEXT) | instid1(VALU_DEP_1)
	v_min_u32_e32 v22, 32, v22
	v_subrev_nc_u32_e32 v83, 29, v22
	v_sub_nc_u32_e32 v22, 30, v22
	s_delay_alu instid0(VALU_DEP_1) | instskip(NEXT) | instid1(VALU_DEP_1)
	v_dual_cndmask_b32 v22, v97, v22 :: v_dual_lshlrev_b32 v83, v83, v19
	v_and_b32_e32 v83, 3, v83
	s_delay_alu instid0(VALU_DEP_2) | instskip(NEXT) | instid1(VALU_DEP_2)
	v_lshl_add_u32 v22, v22, 23, 0x37800000
	v_cndmask_b32_e32 v17, v17, v83, vcc_lo
	v_and_b32_e32 v83, 0x80000000, v160
	s_delay_alu instid0(VALU_DEP_2) | instskip(NEXT) | instid1(VALU_DEP_1)
	v_lshlrev_b32_e32 v17, 21, v17
	v_or3_b32 v17, v83, v22, v17
.LBB0_163:                              ;   in Loop: Header=BB0_130 Depth=3
	s_or_b32 exec_lo, exec_lo, s21
	v_and_b32_e32 v83, 0xff, v96
	s_mov_b32 s10, 0
	s_mov_b32 s22, exec_lo
                                        ; implicit-def: $sgpr21
	s_delay_alu instid0(VALU_DEP_1)
	v_cmpx_lt_i16_e32 0x7f, v83
	s_xor_b32 s22, exec_lo, s22
	s_cbranch_execnz .LBB0_382
; %bb.164:                              ;   in Loop: Header=BB0_130 Depth=3
	s_or_saveexec_b32 s22, s22
	v_mov_b32_e32 v22, s21
	s_xor_b32 exec_lo, exec_lo, s22
	s_cbranch_execnz .LBB0_385
.LBB0_165:                              ;   in Loop: Header=BB0_130 Depth=3
	s_or_b32 exec_lo, exec_lo, s22
	s_and_saveexec_b32 s21, s10
	s_cbranch_execz .LBB0_167
.LBB0_166:                              ;   in Loop: Header=BB0_130 Depth=3
	v_bfe_u32 v160, v96, 2, 5
	s_delay_alu instid0(VALU_DEP_1) | instskip(SKIP_1) | instid1(VALU_DEP_1)
	v_cmp_eq_u32_e32 vcc_lo, 0, v160
	v_and_b32_e32 v22, 3, v96
	v_clz_i32_u32_e32 v83, v22
	s_delay_alu instid0(VALU_DEP_1) | instskip(NEXT) | instid1(VALU_DEP_1)
	v_min_u32_e32 v83, 32, v83
	v_subrev_nc_u32_e32 v97, 29, v83
	v_sub_nc_u32_e32 v83, 30, v83
	s_delay_alu instid0(VALU_DEP_2) | instskip(NEXT) | instid1(VALU_DEP_2)
	v_lshlrev_b32_e32 v97, v97, v96
	v_cndmask_b32_e32 v83, v160, v83, vcc_lo
	s_delay_alu instid0(VALU_DEP_2) | instskip(SKIP_1) | instid1(VALU_DEP_3)
	v_and_b32_e32 v97, 3, v97
	v_lshlrev_b32_e32 v161, 24, v96
	v_lshl_add_u32 v83, v83, 23, 0x37800000
	s_delay_alu instid0(VALU_DEP_3) | instskip(NEXT) | instid1(VALU_DEP_3)
	v_cndmask_b32_e32 v22, v22, v97, vcc_lo
	v_and_b32_e32 v97, 0x80000000, v161
	s_delay_alu instid0(VALU_DEP_2) | instskip(NEXT) | instid1(VALU_DEP_1)
	v_lshlrev_b32_e32 v22, 21, v22
	v_or3_b32 v22, v97, v83, v22
.LBB0_167:                              ;   in Loop: Header=BB0_130 Depth=3
	s_or_b32 exec_lo, exec_lo, s21
	s_delay_alu instid0(VALU_DEP_1) | instskip(NEXT) | instid1(VALU_DEP_1)
	v_dual_max_f32 v22, v22, v22 :: v_dual_max_f32 v17, v17, v17
	v_min_f32_e32 v22, v17, v22
.LBB0_168:                              ;   in Loop: Header=BB0_130 Depth=3
	s_or_b32 exec_lo, exec_lo, s9
	s_delay_alu instid0(VALU_DEP_1) | instskip(NEXT) | instid1(VALU_DEP_1)
	v_and_b32_e32 v17, 0x7f800000, v22
	v_cmp_ne_u32_e32 vcc_lo, 0x7f800000, v17
	v_mov_b32_e32 v17, 0x80
	s_and_saveexec_b32 s10, vcc_lo
	s_cbranch_execz .LBB0_176
; %bb.169:                              ;   in Loop: Header=BB0_130 Depth=3
	v_mov_b32_e32 v17, 0
	s_mov_b32 s21, exec_lo
	v_cmpx_ne_u32_e32 0, v22
	s_cbranch_execz .LBB0_175
; %bb.170:                              ;   in Loop: Header=BB0_130 Depth=3
	v_bfe_u32 v17, v22, 23, 8
	v_and_b32_e32 v83, 0x7fffff, v22
	s_delay_alu instid0(VALU_DEP_2) | instskip(SKIP_1) | instid1(VALU_DEP_3)
	v_sub_nc_u32_e32 v97, 0x70, v17
	v_cmp_gt_u32_e32 vcc_lo, 0x71, v17
	v_or_b32_e32 v160, 0x800000, v83
	s_delay_alu instid0(VALU_DEP_3) | instskip(SKIP_2) | instid1(VALU_DEP_3)
	v_cndmask_b32_e32 v97, 0, v97, vcc_lo
	v_cmp_eq_u32_e32 vcc_lo, 0, v17
	v_add_nc_u32_e32 v17, 0xffffff91, v17
	v_cndmask_b32_e64 v97, v97, 0x6f, vcc_lo
	v_cndmask_b32_e32 v83, v160, v83, vcc_lo
	s_delay_alu instid0(VALU_DEP_3) | instskip(NEXT) | instid1(VALU_DEP_3)
	v_cndmask_b32_e64 v17, v17, 0xffffff92, vcc_lo
	v_lshl_add_u32 v160, 0x200000, v97, -1
	s_delay_alu instid0(VALU_DEP_3) | instskip(SKIP_1) | instid1(VALU_DEP_4)
	v_lshrrev_b32_e32 v161, v97, v83
	v_lshlrev_b32_e64 v163, v97, 0x100000
	v_add_nc_u32_e32 v97, v97, v17
	s_delay_alu instid0(VALU_DEP_4) | instskip(NEXT) | instid1(VALU_DEP_4)
	v_and_b32_e32 v83, v160, v83
	v_bfe_u32 v162, v161, 21, 1
	s_delay_alu instid0(VALU_DEP_2) | instskip(NEXT) | instid1(VALU_DEP_2)
	v_cmp_eq_u32_e64 s9, v83, v163
	v_add_nc_u32_e32 v160, -1, v162
	s_delay_alu instid0(VALU_DEP_1) | instskip(SKIP_2) | instid1(VALU_DEP_2)
	v_cndmask_b32_e64 v83, 0, v160, s9
	v_lshrrev_b32_e32 v160, 23, v161
	s_mov_b32 s9, exec_lo
	v_add_nc_u32_e32 v83, v83, v161
	s_delay_alu instid0(VALU_DEP_2) | instskip(NEXT) | instid1(VALU_DEP_2)
	v_xor_b32_e32 v160, 1, v160
	v_and_b32_e32 v17, 0x1fffff, v83
	s_delay_alu instid0(VALU_DEP_1) | instskip(NEXT) | instid1(VALU_DEP_3)
	v_add_nc_u32_e32 v83, v17, v161
                                        ; implicit-def: $vgpr17
	v_cmpx_ne_u32_e64 v97, v160
	s_xor_b32 s9, exec_lo, s9
; %bb.171:                              ;   in Loop: Header=BB0_130 Depth=3
	s_delay_alu instid0(VALU_DEP_2) | instskip(SKIP_2) | instid1(VALU_DEP_2)
	v_cmp_lt_u32_e32 vcc_lo, 0xffffff, v83
	v_sub_nc_u32_e32 v17, v97, v160
	v_cndmask_b32_e64 v97, 0, 1, vcc_lo
	v_add_co_ci_u32_e32 v17, vcc_lo, 0, v17, vcc_lo
	s_delay_alu instid0(VALU_DEP_2)
	v_lshrrev_b32_e32 v83, v97, v83
; %bb.172:                              ;   in Loop: Header=BB0_130 Depth=3
	s_and_not1_saveexec_b32 s9, s9
; %bb.173:                              ;   in Loop: Header=BB0_130 Depth=3
	s_delay_alu instid0(VALU_DEP_1)
	v_bfe_u32 v17, v83, 23, 1
; %bb.174:                              ;   in Loop: Header=BB0_130 Depth=3
	s_or_b32 exec_lo, exec_lo, s9
	v_lshrrev_b32_e32 v83, 21, v83
	s_delay_alu instid0(VALU_DEP_2) | instskip(SKIP_2) | instid1(VALU_DEP_2)
	v_cmp_gt_i32_e32 vcc_lo, 32, v17
	v_lshrrev_b32_e32 v22, 24, v22
	v_min_i32_e32 v97, 31, v17
	v_dual_cndmask_b32 v83, 3, v83 :: v_dual_and_b32 v22, 0x80, v22
	s_delay_alu instid0(VALU_DEP_2) | instskip(NEXT) | instid1(VALU_DEP_2)
	v_lshlrev_b32_e32 v97, 2, v97
	v_or_b32_e32 v17, v17, v83
	s_delay_alu instid0(VALU_DEP_1) | instskip(SKIP_1) | instid1(VALU_DEP_1)
	v_cmp_ne_u32_e32 vcc_lo, 0, v17
	v_and_b32_e32 v160, 3, v83
	v_or3_b32 v22, v97, v22, v160
	s_delay_alu instid0(VALU_DEP_1)
	v_cndmask_b32_e32 v17, 0, v22, vcc_lo
.LBB0_175:                              ;   in Loop: Header=BB0_130 Depth=3
	s_or_b32 exec_lo, exec_lo, s21
.LBB0_176:                              ;   in Loop: Header=BB0_130 Depth=3
	s_delay_alu instid0(SALU_CYCLE_1) | instskip(SKIP_3) | instid1(SALU_CYCLE_1)
	s_or_b32 exec_lo, exec_lo, s10
	v_lshrrev_b16 v83, 8, v19
	v_lshrrev_b16 v22, 8, v96
                                        ; implicit-def: $vgpr97
	s_and_saveexec_b32 s9, s6
	s_xor_b32 s9, exec_lo, s9
	s_cbranch_execz .LBB0_186
; %bb.177:                              ;   in Loop: Header=BB0_130 Depth=3
	s_mov_b32 s10, 0
	s_mov_b32 s22, exec_lo
                                        ; implicit-def: $sgpr21
	v_cmpx_lt_i16_e32 0x7f, v83
	s_xor_b32 s22, exec_lo, s22
	s_cbranch_execnz .LBB0_386
; %bb.178:                              ;   in Loop: Header=BB0_130 Depth=3
	s_or_saveexec_b32 s22, s22
	v_mov_b32_e32 v97, s21
	s_xor_b32 exec_lo, exec_lo, s22
	s_cbranch_execnz .LBB0_389
.LBB0_179:                              ;   in Loop: Header=BB0_130 Depth=3
	s_or_b32 exec_lo, exec_lo, s22
	s_and_saveexec_b32 s21, s10
	s_cbranch_execz .LBB0_181
.LBB0_180:                              ;   in Loop: Header=BB0_130 Depth=3
	v_and_b32_e32 v83, 0xffff, v83
	s_delay_alu instid0(VALU_DEP_1) | instskip(NEXT) | instid1(VALU_DEP_1)
	v_and_b32_e32 v97, 3, v83
	v_clz_i32_u32_e32 v160, v97
	s_delay_alu instid0(VALU_DEP_1) | instskip(NEXT) | instid1(VALU_DEP_1)
	v_min_u32_e32 v160, 32, v160
	v_subrev_nc_u32_e32 v161, 29, v160
	v_sub_nc_u32_e32 v160, 30, v160
	s_delay_alu instid0(VALU_DEP_2) | instskip(SKIP_1) | instid1(VALU_DEP_2)
	v_lshlrev_b32_e32 v161, v161, v83
	v_bfe_u32 v83, v83, 2, 5
	v_and_b32_e32 v161, 3, v161
	s_delay_alu instid0(VALU_DEP_2) | instskip(SKIP_1) | instid1(VALU_DEP_1)
	v_cmp_eq_u32_e32 vcc_lo, 0, v83
	v_dual_cndmask_b32 v83, v83, v160 :: v_dual_lshlrev_b32 v162, 16, v19
	v_dual_cndmask_b32 v97, v97, v161 :: v_dual_and_b32 v160, 0x80000000, v162
	s_delay_alu instid0(VALU_DEP_2) | instskip(NEXT) | instid1(VALU_DEP_2)
	v_lshl_add_u32 v83, v83, 23, 0x37800000
	v_lshlrev_b32_e32 v97, 21, v97
	s_delay_alu instid0(VALU_DEP_1)
	v_or3_b32 v97, v160, v83, v97
.LBB0_181:                              ;   in Loop: Header=BB0_130 Depth=3
	s_or_b32 exec_lo, exec_lo, s21
	s_mov_b32 s10, 0
	s_mov_b32 s22, exec_lo
                                        ; implicit-def: $sgpr21
	v_cmpx_lt_i16_e32 0x7f, v22
	s_xor_b32 s22, exec_lo, s22
	s_cbranch_execnz .LBB0_390
; %bb.182:                              ;   in Loop: Header=BB0_130 Depth=3
	s_or_saveexec_b32 s22, s22
	v_mov_b32_e32 v83, s21
	s_xor_b32 exec_lo, exec_lo, s22
	s_cbranch_execnz .LBB0_393
.LBB0_183:                              ;   in Loop: Header=BB0_130 Depth=3
	s_or_b32 exec_lo, exec_lo, s22
	s_and_saveexec_b32 s21, s10
	s_cbranch_execz .LBB0_185
.LBB0_184:                              ;   in Loop: Header=BB0_130 Depth=3
	v_and_b32_e32 v22, 0xffff, v22
	v_lshlrev_b32_e32 v162, 16, v96
	s_delay_alu instid0(VALU_DEP_2) | instskip(NEXT) | instid1(VALU_DEP_1)
	v_and_b32_e32 v83, 3, v22
	v_clz_i32_u32_e32 v160, v83
	s_delay_alu instid0(VALU_DEP_1) | instskip(NEXT) | instid1(VALU_DEP_1)
	v_min_u32_e32 v160, 32, v160
	v_subrev_nc_u32_e32 v161, 29, v160
	v_sub_nc_u32_e32 v160, 30, v160
	s_delay_alu instid0(VALU_DEP_2) | instskip(SKIP_1) | instid1(VALU_DEP_2)
	v_lshlrev_b32_e32 v161, v161, v22
	v_bfe_u32 v22, v22, 2, 5
	v_and_b32_e32 v161, 3, v161
	s_delay_alu instid0(VALU_DEP_2) | instskip(NEXT) | instid1(VALU_DEP_2)
	v_cmp_eq_u32_e32 vcc_lo, 0, v22
	v_dual_cndmask_b32 v22, v22, v160 :: v_dual_cndmask_b32 v83, v83, v161
	v_and_b32_e32 v160, 0x80000000, v162
	s_delay_alu instid0(VALU_DEP_2) | instskip(NEXT) | instid1(VALU_DEP_3)
	v_lshl_add_u32 v22, v22, 23, 0x37800000
	v_lshlrev_b32_e32 v83, 21, v83
	s_delay_alu instid0(VALU_DEP_1)
	v_or3_b32 v83, v160, v22, v83
.LBB0_185:                              ;   in Loop: Header=BB0_130 Depth=3
	s_or_b32 exec_lo, exec_lo, s21
	s_delay_alu instid0(VALU_DEP_1) | instskip(NEXT) | instid1(VALU_DEP_1)
	v_dual_max_f32 v22, v83, v83 :: v_dual_max_f32 v83, v97, v97
	v_max_f32_e32 v97, v83, v22
                                        ; implicit-def: $vgpr22
                                        ; implicit-def: $vgpr83
.LBB0_186:                              ;   in Loop: Header=BB0_130 Depth=3
	s_and_not1_saveexec_b32 s9, s9
	s_cbranch_execz .LBB0_196
; %bb.187:                              ;   in Loop: Header=BB0_130 Depth=3
	s_mov_b32 s10, 0
	s_mov_b32 s22, exec_lo
                                        ; implicit-def: $sgpr21
	v_cmpx_lt_i16_e32 0x7f, v83
	s_xor_b32 s22, exec_lo, s22
	s_cbranch_execnz .LBB0_394
; %bb.188:                              ;   in Loop: Header=BB0_130 Depth=3
	s_or_saveexec_b32 s22, s22
	v_mov_b32_e32 v97, s21
	s_xor_b32 exec_lo, exec_lo, s22
	s_cbranch_execnz .LBB0_397
.LBB0_189:                              ;   in Loop: Header=BB0_130 Depth=3
	s_or_b32 exec_lo, exec_lo, s22
	s_and_saveexec_b32 s21, s10
	s_cbranch_execz .LBB0_191
.LBB0_190:                              ;   in Loop: Header=BB0_130 Depth=3
	v_and_b32_e32 v83, 0xffff, v83
	s_delay_alu instid0(VALU_DEP_1) | instskip(NEXT) | instid1(VALU_DEP_1)
	v_and_b32_e32 v97, 3, v83
	v_clz_i32_u32_e32 v160, v97
	s_delay_alu instid0(VALU_DEP_1) | instskip(NEXT) | instid1(VALU_DEP_1)
	v_min_u32_e32 v160, 32, v160
	v_subrev_nc_u32_e32 v161, 29, v160
	v_sub_nc_u32_e32 v160, 30, v160
	s_delay_alu instid0(VALU_DEP_2) | instskip(SKIP_1) | instid1(VALU_DEP_2)
	v_lshlrev_b32_e32 v161, v161, v83
	v_bfe_u32 v83, v83, 2, 5
	v_and_b32_e32 v161, 3, v161
	s_delay_alu instid0(VALU_DEP_2) | instskip(SKIP_1) | instid1(VALU_DEP_1)
	v_cmp_eq_u32_e32 vcc_lo, 0, v83
	v_dual_cndmask_b32 v83, v83, v160 :: v_dual_lshlrev_b32 v162, 16, v19
	v_dual_cndmask_b32 v97, v97, v161 :: v_dual_and_b32 v160, 0x80000000, v162
	s_delay_alu instid0(VALU_DEP_2) | instskip(NEXT) | instid1(VALU_DEP_2)
	v_lshl_add_u32 v83, v83, 23, 0x37800000
	v_lshlrev_b32_e32 v97, 21, v97
	s_delay_alu instid0(VALU_DEP_1)
	v_or3_b32 v97, v160, v83, v97
.LBB0_191:                              ;   in Loop: Header=BB0_130 Depth=3
	s_or_b32 exec_lo, exec_lo, s21
	s_mov_b32 s10, 0
	s_mov_b32 s22, exec_lo
                                        ; implicit-def: $sgpr21
	v_cmpx_lt_i16_e32 0x7f, v22
	s_xor_b32 s22, exec_lo, s22
	s_cbranch_execnz .LBB0_398
; %bb.192:                              ;   in Loop: Header=BB0_130 Depth=3
	s_or_saveexec_b32 s22, s22
	v_mov_b32_e32 v83, s21
	s_xor_b32 exec_lo, exec_lo, s22
	s_cbranch_execnz .LBB0_401
.LBB0_193:                              ;   in Loop: Header=BB0_130 Depth=3
	s_or_b32 exec_lo, exec_lo, s22
	s_and_saveexec_b32 s21, s10
	s_cbranch_execz .LBB0_195
.LBB0_194:                              ;   in Loop: Header=BB0_130 Depth=3
	v_and_b32_e32 v22, 0xffff, v22
	v_lshlrev_b32_e32 v162, 16, v96
	s_delay_alu instid0(VALU_DEP_2) | instskip(NEXT) | instid1(VALU_DEP_1)
	v_and_b32_e32 v83, 3, v22
	v_clz_i32_u32_e32 v160, v83
	s_delay_alu instid0(VALU_DEP_1) | instskip(NEXT) | instid1(VALU_DEP_1)
	v_min_u32_e32 v160, 32, v160
	v_subrev_nc_u32_e32 v161, 29, v160
	v_sub_nc_u32_e32 v160, 30, v160
	s_delay_alu instid0(VALU_DEP_2) | instskip(SKIP_1) | instid1(VALU_DEP_2)
	v_lshlrev_b32_e32 v161, v161, v22
	v_bfe_u32 v22, v22, 2, 5
	v_and_b32_e32 v161, 3, v161
	s_delay_alu instid0(VALU_DEP_2) | instskip(NEXT) | instid1(VALU_DEP_2)
	v_cmp_eq_u32_e32 vcc_lo, 0, v22
	v_dual_cndmask_b32 v22, v22, v160 :: v_dual_cndmask_b32 v83, v83, v161
	v_and_b32_e32 v160, 0x80000000, v162
	s_delay_alu instid0(VALU_DEP_2) | instskip(NEXT) | instid1(VALU_DEP_3)
	v_lshl_add_u32 v22, v22, 23, 0x37800000
	v_lshlrev_b32_e32 v83, 21, v83
	s_delay_alu instid0(VALU_DEP_1)
	v_or3_b32 v83, v160, v22, v83
.LBB0_195:                              ;   in Loop: Header=BB0_130 Depth=3
	s_or_b32 exec_lo, exec_lo, s21
	s_delay_alu instid0(VALU_DEP_1) | instskip(NEXT) | instid1(VALU_DEP_1)
	v_dual_max_f32 v22, v83, v83 :: v_dual_max_f32 v83, v97, v97
	v_min_f32_e32 v97, v83, v22
.LBB0_196:                              ;   in Loop: Header=BB0_130 Depth=3
	s_or_b32 exec_lo, exec_lo, s9
	s_delay_alu instid0(VALU_DEP_1) | instskip(NEXT) | instid1(VALU_DEP_1)
	v_and_b32_e32 v22, 0x7f800000, v97
	v_cmp_ne_u32_e32 vcc_lo, 0x7f800000, v22
	v_mov_b32_e32 v22, 0x80
	s_and_saveexec_b32 s10, vcc_lo
	s_cbranch_execz .LBB0_204
; %bb.197:                              ;   in Loop: Header=BB0_130 Depth=3
	v_mov_b32_e32 v22, 0
	s_mov_b32 s21, exec_lo
	v_cmpx_ne_u32_e32 0, v97
	s_cbranch_execz .LBB0_203
; %bb.198:                              ;   in Loop: Header=BB0_130 Depth=3
	v_bfe_u32 v22, v97, 23, 8
	s_delay_alu instid0(VALU_DEP_1) | instskip(SKIP_1) | instid1(VALU_DEP_2)
	v_sub_nc_u32_e32 v160, 0x70, v22
	v_cmp_gt_u32_e32 vcc_lo, 0x71, v22
	v_dual_cndmask_b32 v160, 0, v160 :: v_dual_and_b32 v83, 0x7fffff, v97
	s_delay_alu instid0(VALU_DEP_1) | instskip(SKIP_2) | instid1(VALU_DEP_4)
	v_or_b32_e32 v161, 0x800000, v83
	v_cmp_eq_u32_e32 vcc_lo, 0, v22
	v_add_nc_u32_e32 v22, 0xffffff91, v22
	v_cndmask_b32_e64 v160, v160, 0x6f, vcc_lo
	s_delay_alu instid0(VALU_DEP_4) | instskip(NEXT) | instid1(VALU_DEP_3)
	v_cndmask_b32_e32 v83, v161, v83, vcc_lo
	v_cndmask_b32_e64 v22, v22, 0xffffff92, vcc_lo
	s_delay_alu instid0(VALU_DEP_3) | instskip(NEXT) | instid1(VALU_DEP_3)
	v_lshl_add_u32 v161, 0x200000, v160, -1
	v_lshrrev_b32_e32 v162, v160, v83
	v_lshlrev_b32_e64 v164, v160, 0x100000
	s_delay_alu instid0(VALU_DEP_4) | instskip(NEXT) | instid1(VALU_DEP_4)
	v_add_nc_u32_e32 v160, v160, v22
	v_and_b32_e32 v83, v161, v83
	s_delay_alu instid0(VALU_DEP_4) | instskip(NEXT) | instid1(VALU_DEP_2)
	v_bfe_u32 v163, v162, 21, 1
	v_cmp_eq_u32_e64 s9, v83, v164
	s_delay_alu instid0(VALU_DEP_2) | instskip(NEXT) | instid1(VALU_DEP_1)
	v_add_nc_u32_e32 v161, -1, v163
	v_cndmask_b32_e64 v83, 0, v161, s9
	v_lshrrev_b32_e32 v161, 23, v162
	s_mov_b32 s9, exec_lo
	s_delay_alu instid0(VALU_DEP_2) | instskip(NEXT) | instid1(VALU_DEP_2)
	v_add_nc_u32_e32 v83, v83, v162
	v_xor_b32_e32 v161, 1, v161
	s_delay_alu instid0(VALU_DEP_2) | instskip(NEXT) | instid1(VALU_DEP_1)
	v_and_b32_e32 v22, 0x1fffff, v83
	v_add_nc_u32_e32 v83, v22, v162
                                        ; implicit-def: $vgpr22
	s_delay_alu instid0(VALU_DEP_3)
	v_cmpx_ne_u32_e64 v160, v161
	s_xor_b32 s9, exec_lo, s9
; %bb.199:                              ;   in Loop: Header=BB0_130 Depth=3
	s_delay_alu instid0(VALU_DEP_2) | instskip(SKIP_2) | instid1(VALU_DEP_2)
	v_cmp_lt_u32_e32 vcc_lo, 0xffffff, v83
	v_sub_nc_u32_e32 v22, v160, v161
	v_cndmask_b32_e64 v160, 0, 1, vcc_lo
	v_add_co_ci_u32_e32 v22, vcc_lo, 0, v22, vcc_lo
	s_delay_alu instid0(VALU_DEP_2)
	v_lshrrev_b32_e32 v83, v160, v83
; %bb.200:                              ;   in Loop: Header=BB0_130 Depth=3
	s_and_not1_saveexec_b32 s9, s9
; %bb.201:                              ;   in Loop: Header=BB0_130 Depth=3
	s_delay_alu instid0(VALU_DEP_1)
	v_bfe_u32 v22, v83, 23, 1
; %bb.202:                              ;   in Loop: Header=BB0_130 Depth=3
	s_or_b32 exec_lo, exec_lo, s9
	v_lshrrev_b32_e32 v83, 21, v83
	s_delay_alu instid0(VALU_DEP_2) | instskip(SKIP_2) | instid1(VALU_DEP_2)
	v_cmp_gt_i32_e32 vcc_lo, 32, v22
	v_min_i32_e32 v160, 31, v22
	v_lshrrev_b32_e32 v97, 24, v97
	v_dual_cndmask_b32 v83, 3, v83 :: v_dual_lshlrev_b32 v160, 2, v160
	s_delay_alu instid0(VALU_DEP_1) | instskip(SKIP_1) | instid1(VALU_DEP_2)
	v_or_b32_e32 v22, v22, v83
	v_and_b32_e32 v161, 3, v83
	v_cmp_ne_u32_e32 vcc_lo, 0, v22
	v_and_b32_e32 v97, 0x80, v97
	s_delay_alu instid0(VALU_DEP_1) | instskip(NEXT) | instid1(VALU_DEP_1)
	v_or3_b32 v83, v160, v97, v161
	v_cndmask_b32_e32 v22, 0, v83, vcc_lo
.LBB0_203:                              ;   in Loop: Header=BB0_130 Depth=3
	s_or_b32 exec_lo, exec_lo, s21
.LBB0_204:                              ;   in Loop: Header=BB0_130 Depth=3
	s_delay_alu instid0(SALU_CYCLE_1) | instskip(SKIP_3) | instid1(SALU_CYCLE_1)
	s_or_b32 exec_lo, exec_lo, s10
	v_lshrrev_b32_e32 v97, 16, v19
	v_lshrrev_b32_e32 v83, 16, v96
                                        ; implicit-def: $vgpr160
	s_and_saveexec_b32 s9, s6
	s_xor_b32 s9, exec_lo, s9
	s_cbranch_execz .LBB0_214
; %bb.205:                              ;   in Loop: Header=BB0_130 Depth=3
	v_and_b32_e32 v161, 0xff, v97
	s_mov_b32 s10, 0
	s_mov_b32 s22, exec_lo
                                        ; implicit-def: $sgpr21
	s_delay_alu instid0(VALU_DEP_1)
	v_cmpx_lt_i16_e64 0x7f, v161
	s_xor_b32 s22, exec_lo, s22
	s_cbranch_execnz .LBB0_402
; %bb.206:                              ;   in Loop: Header=BB0_130 Depth=3
	s_or_saveexec_b32 s22, s22
	v_mov_b32_e32 v160, s21
	s_xor_b32 exec_lo, exec_lo, s22
	s_cbranch_execnz .LBB0_405
.LBB0_207:                              ;   in Loop: Header=BB0_130 Depth=3
	s_or_b32 exec_lo, exec_lo, s22
	s_and_saveexec_b32 s21, s10
	s_cbranch_execz .LBB0_209
.LBB0_208:                              ;   in Loop: Header=BB0_130 Depth=3
	v_bfe_u32 v160, v19, 16, 2
	v_bfe_u32 v163, v19, 18, 5
	s_delay_alu instid0(VALU_DEP_2) | instskip(NEXT) | instid1(VALU_DEP_2)
	v_clz_i32_u32_e32 v161, v160
	v_cmp_eq_u32_e32 vcc_lo, 0, v163
	s_delay_alu instid0(VALU_DEP_2) | instskip(NEXT) | instid1(VALU_DEP_1)
	v_min_u32_e32 v161, 32, v161
	v_subrev_nc_u32_e32 v162, 29, v161
	v_sub_nc_u32_e32 v161, 30, v161
	s_delay_alu instid0(VALU_DEP_2) | instskip(NEXT) | instid1(VALU_DEP_1)
	v_lshlrev_b32_e32 v162, v162, v97
	v_dual_cndmask_b32 v161, v163, v161 :: v_dual_and_b32 v162, 3, v162
	v_lshlrev_b32_e32 v97, 24, v97
	s_delay_alu instid0(VALU_DEP_2) | instskip(NEXT) | instid1(VALU_DEP_2)
	v_lshl_add_u32 v161, v161, 23, 0x37800000
	v_dual_cndmask_b32 v160, v160, v162 :: v_dual_and_b32 v97, 0x80000000, v97
	s_delay_alu instid0(VALU_DEP_1) | instskip(NEXT) | instid1(VALU_DEP_1)
	v_lshlrev_b32_e32 v160, 21, v160
	v_or3_b32 v160, v97, v161, v160
.LBB0_209:                              ;   in Loop: Header=BB0_130 Depth=3
	s_or_b32 exec_lo, exec_lo, s21
	v_and_b32_e32 v161, 0xff, v83
	s_mov_b32 s10, 0
	s_mov_b32 s22, exec_lo
                                        ; implicit-def: $sgpr21
	s_delay_alu instid0(VALU_DEP_1)
	v_cmpx_lt_i16_e64 0x7f, v161
	s_xor_b32 s22, exec_lo, s22
	s_cbranch_execnz .LBB0_406
; %bb.210:                              ;   in Loop: Header=BB0_130 Depth=3
	s_or_saveexec_b32 s22, s22
	v_mov_b32_e32 v97, s21
	s_xor_b32 exec_lo, exec_lo, s22
	s_cbranch_execnz .LBB0_409
.LBB0_211:                              ;   in Loop: Header=BB0_130 Depth=3
	s_or_b32 exec_lo, exec_lo, s22
	s_and_saveexec_b32 s21, s10
	s_cbranch_execz .LBB0_213
.LBB0_212:                              ;   in Loop: Header=BB0_130 Depth=3
	v_bfe_u32 v97, v96, 16, 2
	v_bfe_u32 v163, v96, 18, 5
	s_delay_alu instid0(VALU_DEP_2) | instskip(NEXT) | instid1(VALU_DEP_2)
	v_clz_i32_u32_e32 v161, v97
	v_cmp_eq_u32_e32 vcc_lo, 0, v163
	s_delay_alu instid0(VALU_DEP_2) | instskip(NEXT) | instid1(VALU_DEP_1)
	v_min_u32_e32 v161, 32, v161
	v_subrev_nc_u32_e32 v162, 29, v161
	v_sub_nc_u32_e32 v161, 30, v161
	s_delay_alu instid0(VALU_DEP_1) | instskip(SKIP_1) | instid1(VALU_DEP_2)
	v_dual_cndmask_b32 v161, v163, v161 :: v_dual_lshlrev_b32 v162, v162, v83
	v_lshlrev_b32_e32 v83, 24, v83
	v_and_b32_e32 v162, 3, v162
	s_delay_alu instid0(VALU_DEP_3) | instskip(NEXT) | instid1(VALU_DEP_3)
	v_lshl_add_u32 v161, v161, 23, 0x37800000
	v_and_b32_e32 v83, 0x80000000, v83
	s_delay_alu instid0(VALU_DEP_3) | instskip(NEXT) | instid1(VALU_DEP_1)
	v_cndmask_b32_e32 v97, v97, v162, vcc_lo
	v_lshlrev_b32_e32 v97, 21, v97
	s_delay_alu instid0(VALU_DEP_1)
	v_or3_b32 v97, v83, v161, v97
.LBB0_213:                              ;   in Loop: Header=BB0_130 Depth=3
	s_or_b32 exec_lo, exec_lo, s21
	s_delay_alu instid0(VALU_DEP_1) | instskip(SKIP_1) | instid1(VALU_DEP_1)
	v_max_f32_e32 v83, v97, v97
	v_max_f32_e32 v97, v160, v160
	;; [unrolled: 1-line block ×3, first 2 shown]
                                        ; implicit-def: $vgpr83
                                        ; implicit-def: $vgpr97
.LBB0_214:                              ;   in Loop: Header=BB0_130 Depth=3
	s_and_not1_saveexec_b32 s9, s9
	s_cbranch_execz .LBB0_224
; %bb.215:                              ;   in Loop: Header=BB0_130 Depth=3
	v_and_b32_e32 v161, 0xff, v97
	s_mov_b32 s10, 0
	s_mov_b32 s22, exec_lo
                                        ; implicit-def: $sgpr21
	s_delay_alu instid0(VALU_DEP_1)
	v_cmpx_lt_i16_e64 0x7f, v161
	s_xor_b32 s22, exec_lo, s22
	s_cbranch_execnz .LBB0_410
; %bb.216:                              ;   in Loop: Header=BB0_130 Depth=3
	s_or_saveexec_b32 s22, s22
	v_mov_b32_e32 v160, s21
	s_xor_b32 exec_lo, exec_lo, s22
	s_cbranch_execnz .LBB0_413
.LBB0_217:                              ;   in Loop: Header=BB0_130 Depth=3
	s_or_b32 exec_lo, exec_lo, s22
	s_and_saveexec_b32 s21, s10
	s_cbranch_execz .LBB0_219
.LBB0_218:                              ;   in Loop: Header=BB0_130 Depth=3
	v_bfe_u32 v160, v19, 16, 2
	v_bfe_u32 v163, v19, 18, 5
	s_delay_alu instid0(VALU_DEP_2) | instskip(NEXT) | instid1(VALU_DEP_2)
	v_clz_i32_u32_e32 v161, v160
	v_cmp_eq_u32_e32 vcc_lo, 0, v163
	s_delay_alu instid0(VALU_DEP_2) | instskip(NEXT) | instid1(VALU_DEP_1)
	v_min_u32_e32 v161, 32, v161
	v_subrev_nc_u32_e32 v162, 29, v161
	v_sub_nc_u32_e32 v161, 30, v161
	s_delay_alu instid0(VALU_DEP_2) | instskip(NEXT) | instid1(VALU_DEP_1)
	v_lshlrev_b32_e32 v162, v162, v97
	v_dual_cndmask_b32 v161, v163, v161 :: v_dual_and_b32 v162, 3, v162
	v_lshlrev_b32_e32 v97, 24, v97
	s_delay_alu instid0(VALU_DEP_2) | instskip(NEXT) | instid1(VALU_DEP_2)
	v_lshl_add_u32 v161, v161, 23, 0x37800000
	v_dual_cndmask_b32 v160, v160, v162 :: v_dual_and_b32 v97, 0x80000000, v97
	s_delay_alu instid0(VALU_DEP_1) | instskip(NEXT) | instid1(VALU_DEP_1)
	v_lshlrev_b32_e32 v160, 21, v160
	v_or3_b32 v160, v97, v161, v160
.LBB0_219:                              ;   in Loop: Header=BB0_130 Depth=3
	s_or_b32 exec_lo, exec_lo, s21
	v_and_b32_e32 v161, 0xff, v83
	s_mov_b32 s10, 0
	s_mov_b32 s22, exec_lo
                                        ; implicit-def: $sgpr21
	s_delay_alu instid0(VALU_DEP_1)
	v_cmpx_lt_i16_e64 0x7f, v161
	s_xor_b32 s22, exec_lo, s22
	s_cbranch_execnz .LBB0_414
; %bb.220:                              ;   in Loop: Header=BB0_130 Depth=3
	s_or_saveexec_b32 s22, s22
	v_mov_b32_e32 v97, s21
	s_xor_b32 exec_lo, exec_lo, s22
	s_cbranch_execnz .LBB0_417
.LBB0_221:                              ;   in Loop: Header=BB0_130 Depth=3
	s_or_b32 exec_lo, exec_lo, s22
	s_and_saveexec_b32 s21, s10
	s_cbranch_execz .LBB0_223
.LBB0_222:                              ;   in Loop: Header=BB0_130 Depth=3
	v_bfe_u32 v97, v96, 16, 2
	v_bfe_u32 v163, v96, 18, 5
	s_delay_alu instid0(VALU_DEP_2) | instskip(NEXT) | instid1(VALU_DEP_2)
	v_clz_i32_u32_e32 v161, v97
	v_cmp_eq_u32_e32 vcc_lo, 0, v163
	s_delay_alu instid0(VALU_DEP_2) | instskip(NEXT) | instid1(VALU_DEP_1)
	v_min_u32_e32 v161, 32, v161
	v_subrev_nc_u32_e32 v162, 29, v161
	v_sub_nc_u32_e32 v161, 30, v161
	s_delay_alu instid0(VALU_DEP_1) | instskip(SKIP_1) | instid1(VALU_DEP_2)
	v_dual_cndmask_b32 v161, v163, v161 :: v_dual_lshlrev_b32 v162, v162, v83
	v_lshlrev_b32_e32 v83, 24, v83
	v_and_b32_e32 v162, 3, v162
	s_delay_alu instid0(VALU_DEP_3) | instskip(NEXT) | instid1(VALU_DEP_3)
	v_lshl_add_u32 v161, v161, 23, 0x37800000
	v_and_b32_e32 v83, 0x80000000, v83
	s_delay_alu instid0(VALU_DEP_3) | instskip(NEXT) | instid1(VALU_DEP_1)
	v_cndmask_b32_e32 v97, v97, v162, vcc_lo
	v_lshlrev_b32_e32 v97, 21, v97
	s_delay_alu instid0(VALU_DEP_1)
	v_or3_b32 v97, v83, v161, v97
.LBB0_223:                              ;   in Loop: Header=BB0_130 Depth=3
	s_or_b32 exec_lo, exec_lo, s21
	s_delay_alu instid0(VALU_DEP_1) | instskip(SKIP_1) | instid1(VALU_DEP_1)
	v_max_f32_e32 v83, v97, v97
	v_max_f32_e32 v97, v160, v160
	v_min_f32_e32 v160, v97, v83
.LBB0_224:                              ;   in Loop: Header=BB0_130 Depth=3
	s_or_b32 exec_lo, exec_lo, s9
	s_delay_alu instid0(VALU_DEP_1) | instskip(NEXT) | instid1(VALU_DEP_1)
	v_and_b32_e32 v83, 0x7f800000, v160
	v_cmp_ne_u32_e32 vcc_lo, 0x7f800000, v83
	v_mov_b32_e32 v83, 0x80
	s_and_saveexec_b32 s10, vcc_lo
	s_cbranch_execz .LBB0_232
; %bb.225:                              ;   in Loop: Header=BB0_130 Depth=3
	v_mov_b32_e32 v83, 0
	s_mov_b32 s21, exec_lo
	v_cmpx_ne_u32_e32 0, v160
	s_cbranch_execz .LBB0_231
; %bb.226:                              ;   in Loop: Header=BB0_130 Depth=3
	v_bfe_u32 v83, v160, 23, 8
	v_and_b32_e32 v97, 0x7fffff, v160
	s_delay_alu instid0(VALU_DEP_2) | instskip(SKIP_1) | instid1(VALU_DEP_3)
	v_sub_nc_u32_e32 v161, 0x70, v83
	v_cmp_gt_u32_e32 vcc_lo, 0x71, v83
	v_or_b32_e32 v162, 0x800000, v97
	s_delay_alu instid0(VALU_DEP_3) | instskip(SKIP_2) | instid1(VALU_DEP_3)
	v_cndmask_b32_e32 v161, 0, v161, vcc_lo
	v_cmp_eq_u32_e32 vcc_lo, 0, v83
	v_add_nc_u32_e32 v83, 0xffffff91, v83
	v_cndmask_b32_e64 v161, v161, 0x6f, vcc_lo
	v_cndmask_b32_e32 v97, v162, v97, vcc_lo
	s_delay_alu instid0(VALU_DEP_3) | instskip(NEXT) | instid1(VALU_DEP_3)
	v_cndmask_b32_e64 v83, v83, 0xffffff92, vcc_lo
	v_lshl_add_u32 v162, 0x200000, v161, -1
	s_delay_alu instid0(VALU_DEP_3) | instskip(SKIP_1) | instid1(VALU_DEP_4)
	v_lshrrev_b32_e32 v163, v161, v97
	v_lshlrev_b32_e64 v165, v161, 0x100000
	v_add_nc_u32_e32 v161, v161, v83
	s_delay_alu instid0(VALU_DEP_4) | instskip(NEXT) | instid1(VALU_DEP_4)
	v_and_b32_e32 v97, v162, v97
	v_bfe_u32 v164, v163, 21, 1
	s_delay_alu instid0(VALU_DEP_2) | instskip(NEXT) | instid1(VALU_DEP_2)
	v_cmp_eq_u32_e64 s9, v97, v165
	v_add_nc_u32_e32 v162, -1, v164
	s_delay_alu instid0(VALU_DEP_1) | instskip(SKIP_2) | instid1(VALU_DEP_2)
	v_cndmask_b32_e64 v97, 0, v162, s9
	v_lshrrev_b32_e32 v162, 23, v163
	s_mov_b32 s9, exec_lo
	v_add_nc_u32_e32 v97, v97, v163
	s_delay_alu instid0(VALU_DEP_2) | instskip(NEXT) | instid1(VALU_DEP_2)
	v_xor_b32_e32 v162, 1, v162
	v_and_b32_e32 v83, 0x1fffff, v97
	s_delay_alu instid0(VALU_DEP_1) | instskip(NEXT) | instid1(VALU_DEP_3)
	v_add_nc_u32_e32 v97, v83, v163
                                        ; implicit-def: $vgpr83
	v_cmpx_ne_u32_e64 v161, v162
	s_xor_b32 s9, exec_lo, s9
; %bb.227:                              ;   in Loop: Header=BB0_130 Depth=3
	s_delay_alu instid0(VALU_DEP_2) | instskip(SKIP_2) | instid1(VALU_DEP_2)
	v_cmp_lt_u32_e32 vcc_lo, 0xffffff, v97
	v_sub_nc_u32_e32 v83, v161, v162
	v_cndmask_b32_e64 v161, 0, 1, vcc_lo
	v_add_co_ci_u32_e32 v83, vcc_lo, 0, v83, vcc_lo
	s_delay_alu instid0(VALU_DEP_2)
	v_lshrrev_b32_e32 v97, v161, v97
; %bb.228:                              ;   in Loop: Header=BB0_130 Depth=3
	s_and_not1_saveexec_b32 s9, s9
; %bb.229:                              ;   in Loop: Header=BB0_130 Depth=3
	s_delay_alu instid0(VALU_DEP_1)
	v_bfe_u32 v83, v97, 23, 1
; %bb.230:                              ;   in Loop: Header=BB0_130 Depth=3
	s_or_b32 exec_lo, exec_lo, s9
	v_lshrrev_b32_e32 v97, 21, v97
	s_delay_alu instid0(VALU_DEP_2) | instskip(SKIP_2) | instid1(VALU_DEP_2)
	v_cmp_gt_i32_e32 vcc_lo, 32, v83
	v_lshrrev_b32_e32 v160, 24, v160
	v_min_i32_e32 v161, 31, v83
	v_dual_cndmask_b32 v97, 3, v97 :: v_dual_and_b32 v160, 0x80, v160
	s_delay_alu instid0(VALU_DEP_2) | instskip(NEXT) | instid1(VALU_DEP_2)
	v_lshlrev_b32_e32 v161, 2, v161
	v_and_b32_e32 v162, 3, v97
	v_or_b32_e32 v83, v83, v97
	s_delay_alu instid0(VALU_DEP_2) | instskip(NEXT) | instid1(VALU_DEP_2)
	v_or3_b32 v97, v161, v160, v162
	v_cmp_ne_u32_e32 vcc_lo, 0, v83
	s_delay_alu instid0(VALU_DEP_2)
	v_cndmask_b32_e32 v83, 0, v97, vcc_lo
.LBB0_231:                              ;   in Loop: Header=BB0_130 Depth=3
	s_or_b32 exec_lo, exec_lo, s21
.LBB0_232:                              ;   in Loop: Header=BB0_130 Depth=3
	s_delay_alu instid0(SALU_CYCLE_1) | instskip(SKIP_3) | instid1(SALU_CYCLE_1)
	s_or_b32 exec_lo, exec_lo, s10
	v_lshrrev_b32_e32 v160, 24, v19
	v_lshrrev_b32_e32 v97, 24, v96
                                        ; implicit-def: $vgpr161
	s_and_saveexec_b32 s9, s6
	s_xor_b32 s9, exec_lo, s9
	s_cbranch_execz .LBB0_242
; %bb.233:                              ;   in Loop: Header=BB0_130 Depth=3
	s_mov_b32 s10, 0
	s_mov_b32 s22, exec_lo
                                        ; implicit-def: $sgpr21
	v_cmpx_lt_i16_e64 0x7f, v160
	s_xor_b32 s22, exec_lo, s22
	s_cbranch_execnz .LBB0_418
; %bb.234:                              ;   in Loop: Header=BB0_130 Depth=3
	s_or_saveexec_b32 s22, s22
	v_mov_b32_e32 v161, s21
	s_xor_b32 exec_lo, exec_lo, s22
	s_cbranch_execnz .LBB0_421
.LBB0_235:                              ;   in Loop: Header=BB0_130 Depth=3
	s_or_b32 exec_lo, exec_lo, s22
	s_and_saveexec_b32 s21, s10
	s_cbranch_execz .LBB0_237
.LBB0_236:                              ;   in Loop: Header=BB0_130 Depth=3
	v_bfe_u32 v161, v19, 24, 2
	s_delay_alu instid0(VALU_DEP_1) | instskip(NEXT) | instid1(VALU_DEP_1)
	v_clz_i32_u32_e32 v162, v161
	v_min_u32_e32 v162, 32, v162
	s_delay_alu instid0(VALU_DEP_1) | instskip(SKIP_1) | instid1(VALU_DEP_2)
	v_subrev_nc_u32_e32 v163, 29, v162
	v_sub_nc_u32_e32 v162, 30, v162
	v_lshlrev_b32_e32 v160, v163, v160
	v_bfe_u32 v163, v19, 26, 5
	v_and_b32_e32 v19, 0x80000000, v19
	s_delay_alu instid0(VALU_DEP_3) | instskip(NEXT) | instid1(VALU_DEP_3)
	v_and_b32_e32 v160, 3, v160
	v_cmp_eq_u32_e32 vcc_lo, 0, v163
	v_cndmask_b32_e32 v162, v163, v162, vcc_lo
	s_delay_alu instid0(VALU_DEP_3) | instskip(NEXT) | instid1(VALU_DEP_2)
	v_cndmask_b32_e32 v160, v161, v160, vcc_lo
	v_lshl_add_u32 v161, v162, 23, 0x37800000
	s_delay_alu instid0(VALU_DEP_2) | instskip(NEXT) | instid1(VALU_DEP_1)
	v_lshlrev_b32_e32 v160, 21, v160
	v_or3_b32 v161, v19, v161, v160
.LBB0_237:                              ;   in Loop: Header=BB0_130 Depth=3
	s_or_b32 exec_lo, exec_lo, s21
	s_mov_b32 s10, 0
	s_mov_b32 s22, exec_lo
                                        ; implicit-def: $sgpr21
	v_cmpx_lt_i16_e32 0x7f, v97
	s_xor_b32 s22, exec_lo, s22
	s_cbranch_execnz .LBB0_422
; %bb.238:                              ;   in Loop: Header=BB0_130 Depth=3
	s_or_saveexec_b32 s22, s22
	v_mov_b32_e32 v19, s21
	s_xor_b32 exec_lo, exec_lo, s22
	s_cbranch_execnz .LBB0_425
.LBB0_239:                              ;   in Loop: Header=BB0_130 Depth=3
	s_or_b32 exec_lo, exec_lo, s22
	s_and_saveexec_b32 s21, s10
	s_cbranch_execz .LBB0_241
.LBB0_240:                              ;   in Loop: Header=BB0_130 Depth=3
	v_bfe_u32 v19, v96, 24, 2
	s_delay_alu instid0(VALU_DEP_1) | instskip(NEXT) | instid1(VALU_DEP_1)
	v_clz_i32_u32_e32 v160, v19
	v_min_u32_e32 v160, 32, v160
	s_delay_alu instid0(VALU_DEP_1) | instskip(SKIP_1) | instid1(VALU_DEP_2)
	v_subrev_nc_u32_e32 v162, 29, v160
	v_sub_nc_u32_e32 v160, 30, v160
	v_lshlrev_b32_e32 v97, v162, v97
	v_bfe_u32 v162, v96, 26, 5
	v_and_b32_e32 v96, 0x80000000, v96
	s_delay_alu instid0(VALU_DEP_2) | instskip(NEXT) | instid1(VALU_DEP_4)
	v_cmp_eq_u32_e32 vcc_lo, 0, v162
	v_dual_cndmask_b32 v160, v162, v160 :: v_dual_and_b32 v97, 3, v97
	s_delay_alu instid0(VALU_DEP_1) | instskip(NEXT) | instid1(VALU_DEP_2)
	v_cndmask_b32_e32 v19, v19, v97, vcc_lo
	v_lshl_add_u32 v97, v160, 23, 0x37800000
	s_delay_alu instid0(VALU_DEP_2) | instskip(NEXT) | instid1(VALU_DEP_1)
	v_lshlrev_b32_e32 v19, 21, v19
	v_or3_b32 v19, v96, v97, v19
.LBB0_241:                              ;   in Loop: Header=BB0_130 Depth=3
	s_or_b32 exec_lo, exec_lo, s21
	s_delay_alu instid0(VALU_DEP_1) | instskip(NEXT) | instid1(VALU_DEP_1)
	v_dual_max_f32 v19, v19, v19 :: v_dual_max_f32 v96, v161, v161
                                        ; implicit-def: $vgpr97
                                        ; implicit-def: $vgpr160
	v_max_f32_e32 v161, v96, v19
                                        ; implicit-def: $vgpr96
.LBB0_242:                              ;   in Loop: Header=BB0_130 Depth=3
	s_and_not1_saveexec_b32 s9, s9
	s_cbranch_execz .LBB0_252
; %bb.243:                              ;   in Loop: Header=BB0_130 Depth=3
	s_mov_b32 s10, 0
	s_mov_b32 s22, exec_lo
                                        ; implicit-def: $sgpr21
	v_cmpx_lt_i16_e64 0x7f, v160
	s_xor_b32 s22, exec_lo, s22
	s_cbranch_execnz .LBB0_426
; %bb.244:                              ;   in Loop: Header=BB0_130 Depth=3
	s_or_saveexec_b32 s22, s22
	v_mov_b32_e32 v161, s21
	s_xor_b32 exec_lo, exec_lo, s22
	s_cbranch_execnz .LBB0_429
.LBB0_245:                              ;   in Loop: Header=BB0_130 Depth=3
	s_or_b32 exec_lo, exec_lo, s22
	s_and_saveexec_b32 s21, s10
	s_cbranch_execz .LBB0_247
.LBB0_246:                              ;   in Loop: Header=BB0_130 Depth=3
	v_bfe_u32 v161, v19, 24, 2
	s_delay_alu instid0(VALU_DEP_1) | instskip(NEXT) | instid1(VALU_DEP_1)
	v_clz_i32_u32_e32 v162, v161
	v_min_u32_e32 v162, 32, v162
	s_delay_alu instid0(VALU_DEP_1) | instskip(SKIP_1) | instid1(VALU_DEP_2)
	v_subrev_nc_u32_e32 v163, 29, v162
	v_sub_nc_u32_e32 v162, 30, v162
	v_lshlrev_b32_e32 v160, v163, v160
	v_bfe_u32 v163, v19, 26, 5
	v_and_b32_e32 v19, 0x80000000, v19
	s_delay_alu instid0(VALU_DEP_3) | instskip(NEXT) | instid1(VALU_DEP_3)
	v_and_b32_e32 v160, 3, v160
	v_cmp_eq_u32_e32 vcc_lo, 0, v163
	v_cndmask_b32_e32 v162, v163, v162, vcc_lo
	s_delay_alu instid0(VALU_DEP_3) | instskip(NEXT) | instid1(VALU_DEP_2)
	v_cndmask_b32_e32 v160, v161, v160, vcc_lo
	v_lshl_add_u32 v161, v162, 23, 0x37800000
	s_delay_alu instid0(VALU_DEP_2) | instskip(NEXT) | instid1(VALU_DEP_1)
	v_lshlrev_b32_e32 v160, 21, v160
	v_or3_b32 v161, v19, v161, v160
.LBB0_247:                              ;   in Loop: Header=BB0_130 Depth=3
	s_or_b32 exec_lo, exec_lo, s21
	s_mov_b32 s10, 0
	s_mov_b32 s22, exec_lo
                                        ; implicit-def: $sgpr21
	v_cmpx_lt_i16_e32 0x7f, v97
	s_xor_b32 s22, exec_lo, s22
	s_cbranch_execnz .LBB0_430
; %bb.248:                              ;   in Loop: Header=BB0_130 Depth=3
	s_or_saveexec_b32 s22, s22
	v_mov_b32_e32 v19, s21
	s_xor_b32 exec_lo, exec_lo, s22
	s_cbranch_execnz .LBB0_433
.LBB0_249:                              ;   in Loop: Header=BB0_130 Depth=3
	s_or_b32 exec_lo, exec_lo, s22
	s_and_saveexec_b32 s21, s10
	s_cbranch_execz .LBB0_251
.LBB0_250:                              ;   in Loop: Header=BB0_130 Depth=3
	v_bfe_u32 v19, v96, 24, 2
	s_delay_alu instid0(VALU_DEP_1) | instskip(NEXT) | instid1(VALU_DEP_1)
	v_clz_i32_u32_e32 v160, v19
	v_min_u32_e32 v160, 32, v160
	s_delay_alu instid0(VALU_DEP_1) | instskip(SKIP_1) | instid1(VALU_DEP_2)
	v_subrev_nc_u32_e32 v162, 29, v160
	v_sub_nc_u32_e32 v160, 30, v160
	v_lshlrev_b32_e32 v97, v162, v97
	v_bfe_u32 v162, v96, 26, 5
	v_and_b32_e32 v96, 0x80000000, v96
	s_delay_alu instid0(VALU_DEP_2) | instskip(NEXT) | instid1(VALU_DEP_4)
	v_cmp_eq_u32_e32 vcc_lo, 0, v162
	v_dual_cndmask_b32 v160, v162, v160 :: v_dual_and_b32 v97, 3, v97
	s_delay_alu instid0(VALU_DEP_1) | instskip(NEXT) | instid1(VALU_DEP_2)
	v_cndmask_b32_e32 v19, v19, v97, vcc_lo
	v_lshl_add_u32 v97, v160, 23, 0x37800000
	s_delay_alu instid0(VALU_DEP_2) | instskip(NEXT) | instid1(VALU_DEP_1)
	v_lshlrev_b32_e32 v19, 21, v19
	v_or3_b32 v19, v96, v97, v19
.LBB0_251:                              ;   in Loop: Header=BB0_130 Depth=3
	s_or_b32 exec_lo, exec_lo, s21
	s_delay_alu instid0(VALU_DEP_1) | instskip(NEXT) | instid1(VALU_DEP_1)
	v_dual_max_f32 v19, v19, v19 :: v_dual_max_f32 v96, v161, v161
	v_min_f32_e32 v161, v96, v19
.LBB0_252:                              ;   in Loop: Header=BB0_130 Depth=3
	s_or_b32 exec_lo, exec_lo, s9
	s_delay_alu instid0(VALU_DEP_1) | instskip(SKIP_2) | instid1(VALU_DEP_2)
	v_and_b32_e32 v19, 0x7f800000, v161
	v_mov_b32_e32 v96, 0x80
	s_mov_b32 s10, exec_lo
	v_cmpx_ne_u32_e32 0x7f800000, v19
	s_cbranch_execz .LBB0_260
; %bb.253:                              ;   in Loop: Header=BB0_130 Depth=3
	v_mov_b32_e32 v96, 0
	s_mov_b32 s21, exec_lo
	v_cmpx_ne_u32_e32 0, v161
	s_cbranch_execz .LBB0_259
; %bb.254:                              ;   in Loop: Header=BB0_130 Depth=3
	v_bfe_u32 v19, v161, 23, 8
	v_and_b32_e32 v96, 0x7fffff, v161
	s_delay_alu instid0(VALU_DEP_2) | instskip(SKIP_1) | instid1(VALU_DEP_3)
	v_sub_nc_u32_e32 v97, 0x70, v19
	v_cmp_gt_u32_e32 vcc_lo, 0x71, v19
	v_or_b32_e32 v160, 0x800000, v96
	s_delay_alu instid0(VALU_DEP_3) | instskip(SKIP_1) | instid1(VALU_DEP_3)
	v_cndmask_b32_e32 v97, 0, v97, vcc_lo
	v_cmp_eq_u32_e32 vcc_lo, 0, v19
	v_dual_cndmask_b32 v96, v160, v96 :: v_dual_add_nc_u32 v19, 0xffffff91, v19
	s_delay_alu instid0(VALU_DEP_3) | instskip(NEXT) | instid1(VALU_DEP_2)
	v_cndmask_b32_e64 v97, v97, 0x6f, vcc_lo
	v_cndmask_b32_e64 v19, v19, 0xffffff92, vcc_lo
	s_delay_alu instid0(VALU_DEP_2) | instskip(SKIP_2) | instid1(VALU_DEP_4)
	v_lshrrev_b32_e32 v162, v97, v96
	v_lshl_add_u32 v160, 0x200000, v97, -1
	v_lshlrev_b32_e64 v164, v97, 0x100000
	v_add_nc_u32_e32 v97, v97, v19
	s_delay_alu instid0(VALU_DEP_4) | instskip(NEXT) | instid1(VALU_DEP_4)
	v_bfe_u32 v163, v162, 21, 1
	v_and_b32_e32 v96, v160, v96
	s_delay_alu instid0(VALU_DEP_2) | instskip(NEXT) | instid1(VALU_DEP_2)
	v_add_nc_u32_e32 v160, -1, v163
	v_cmp_eq_u32_e64 s9, v96, v164
	s_delay_alu instid0(VALU_DEP_1) | instskip(SKIP_2) | instid1(VALU_DEP_2)
	v_cndmask_b32_e64 v96, 0, v160, s9
	v_lshrrev_b32_e32 v160, 23, v162
	s_mov_b32 s9, exec_lo
	v_add_nc_u32_e32 v96, v96, v162
	s_delay_alu instid0(VALU_DEP_2) | instskip(NEXT) | instid1(VALU_DEP_2)
	v_xor_b32_e32 v160, 1, v160
	v_and_b32_e32 v19, 0x1fffff, v96
	s_delay_alu instid0(VALU_DEP_1) | instskip(NEXT) | instid1(VALU_DEP_3)
	v_add_nc_u32_e32 v96, v19, v162
                                        ; implicit-def: $vgpr19
	v_cmpx_ne_u32_e64 v97, v160
	s_xor_b32 s9, exec_lo, s9
; %bb.255:                              ;   in Loop: Header=BB0_130 Depth=3
	s_delay_alu instid0(VALU_DEP_2) | instskip(SKIP_2) | instid1(VALU_DEP_2)
	v_cmp_lt_u32_e32 vcc_lo, 0xffffff, v96
	v_sub_nc_u32_e32 v19, v97, v160
	v_cndmask_b32_e64 v97, 0, 1, vcc_lo
	v_add_co_ci_u32_e32 v19, vcc_lo, 0, v19, vcc_lo
	s_delay_alu instid0(VALU_DEP_2)
	v_lshrrev_b32_e32 v96, v97, v96
; %bb.256:                              ;   in Loop: Header=BB0_130 Depth=3
	s_and_not1_saveexec_b32 s9, s9
; %bb.257:                              ;   in Loop: Header=BB0_130 Depth=3
	s_delay_alu instid0(VALU_DEP_1)
	v_bfe_u32 v19, v96, 23, 1
; %bb.258:                              ;   in Loop: Header=BB0_130 Depth=3
	s_or_b32 exec_lo, exec_lo, s9
	v_lshrrev_b32_e32 v96, 21, v96
	s_delay_alu instid0(VALU_DEP_2) | instskip(SKIP_2) | instid1(VALU_DEP_2)
	v_cmp_gt_i32_e32 vcc_lo, 32, v19
	v_lshrrev_b32_e32 v97, 24, v161
	v_min_i32_e32 v160, 31, v19
	v_dual_cndmask_b32 v96, 3, v96 :: v_dual_and_b32 v97, 0x80, v97
	s_delay_alu instid0(VALU_DEP_2) | instskip(NEXT) | instid1(VALU_DEP_2)
	v_lshlrev_b32_e32 v160, 2, v160
	v_and_b32_e32 v161, 3, v96
	v_or_b32_e32 v19, v19, v96
	s_delay_alu instid0(VALU_DEP_2) | instskip(NEXT) | instid1(VALU_DEP_2)
	v_or3_b32 v96, v160, v97, v161
	v_cmp_ne_u32_e32 vcc_lo, 0, v19
	s_delay_alu instid0(VALU_DEP_2)
	v_cndmask_b32_e32 v96, 0, v96, vcc_lo
.LBB0_259:                              ;   in Loop: Header=BB0_130 Depth=3
	s_or_b32 exec_lo, exec_lo, s21
.LBB0_260:                              ;   in Loop: Header=BB0_130 Depth=3
	s_delay_alu instid0(SALU_CYCLE_1) | instskip(SKIP_2) | instid1(SALU_CYCLE_1)
	s_or_b32 exec_lo, exec_lo, s10
	v_alignbit_b32 v97, v150, v151, v20
                                        ; implicit-def: $vgpr20
	s_and_saveexec_b32 s9, s6
	s_xor_b32 s9, exec_lo, s9
	s_cbranch_execz .LBB0_270
; %bb.261:                              ;   in Loop: Header=BB0_130 Depth=3
	v_and_b32_e32 v20, 0xff, v21
	s_mov_b32 s10, 0
	s_mov_b32 s22, exec_lo
                                        ; implicit-def: $sgpr21
	s_delay_alu instid0(VALU_DEP_1)
	v_cmpx_lt_i16_e32 0x7f, v20
	s_xor_b32 s22, exec_lo, s22
	s_cbranch_execnz .LBB0_434
; %bb.262:                              ;   in Loop: Header=BB0_130 Depth=3
	s_or_saveexec_b32 s22, s22
	v_mov_b32_e32 v19, s21
	s_xor_b32 exec_lo, exec_lo, s22
	s_cbranch_execnz .LBB0_437
.LBB0_263:                              ;   in Loop: Header=BB0_130 Depth=3
	s_or_b32 exec_lo, exec_lo, s22
	s_and_saveexec_b32 s21, s10
	s_cbranch_execz .LBB0_265
.LBB0_264:                              ;   in Loop: Header=BB0_130 Depth=3
	v_bfe_u32 v151, v21, 2, 5
	s_delay_alu instid0(VALU_DEP_1) | instskip(SKIP_1) | instid1(VALU_DEP_1)
	v_cmp_eq_u32_e32 vcc_lo, 0, v151
	v_and_b32_e32 v19, 3, v21
	v_clz_i32_u32_e32 v20, v19
	s_delay_alu instid0(VALU_DEP_1) | instskip(NEXT) | instid1(VALU_DEP_1)
	v_min_u32_e32 v20, 32, v20
	v_subrev_nc_u32_e32 v150, 29, v20
	v_sub_nc_u32_e32 v20, 30, v20
	s_delay_alu instid0(VALU_DEP_2) | instskip(NEXT) | instid1(VALU_DEP_2)
	v_lshlrev_b32_e32 v150, v150, v21
	v_cndmask_b32_e32 v20, v151, v20, vcc_lo
	s_delay_alu instid0(VALU_DEP_2) | instskip(SKIP_1) | instid1(VALU_DEP_3)
	v_and_b32_e32 v150, 3, v150
	v_lshlrev_b32_e32 v160, 24, v21
	v_lshl_add_u32 v20, v20, 23, 0x37800000
	s_delay_alu instid0(VALU_DEP_2) | instskip(NEXT) | instid1(VALU_DEP_1)
	v_dual_cndmask_b32 v19, v19, v150 :: v_dual_and_b32 v150, 0x80000000, v160
	v_lshlrev_b32_e32 v19, 21, v19
	s_delay_alu instid0(VALU_DEP_1)
	v_or3_b32 v19, v150, v20, v19
.LBB0_265:                              ;   in Loop: Header=BB0_130 Depth=3
	s_or_b32 exec_lo, exec_lo, s21
	v_and_b32_e32 v150, 0xff, v97
	s_mov_b32 s10, 0
	s_mov_b32 s22, exec_lo
                                        ; implicit-def: $sgpr21
	s_delay_alu instid0(VALU_DEP_1)
	v_cmpx_lt_i16_e64 0x7f, v150
	s_xor_b32 s22, exec_lo, s22
	s_cbranch_execnz .LBB0_438
; %bb.266:                              ;   in Loop: Header=BB0_130 Depth=3
	s_or_saveexec_b32 s22, s22
	v_mov_b32_e32 v20, s21
	s_xor_b32 exec_lo, exec_lo, s22
	s_cbranch_execnz .LBB0_441
.LBB0_267:                              ;   in Loop: Header=BB0_130 Depth=3
	s_or_b32 exec_lo, exec_lo, s22
	s_and_saveexec_b32 s21, s10
	s_cbranch_execz .LBB0_269
.LBB0_268:                              ;   in Loop: Header=BB0_130 Depth=3
	v_and_b32_e32 v20, 3, v97
	v_bfe_u32 v160, v97, 2, 5
	s_delay_alu instid0(VALU_DEP_2) | instskip(NEXT) | instid1(VALU_DEP_2)
	v_clz_i32_u32_e32 v150, v20
	v_cmp_eq_u32_e32 vcc_lo, 0, v160
	s_delay_alu instid0(VALU_DEP_2) | instskip(NEXT) | instid1(VALU_DEP_1)
	v_min_u32_e32 v150, 32, v150
	v_subrev_nc_u32_e32 v151, 29, v150
	v_sub_nc_u32_e32 v150, 30, v150
	s_delay_alu instid0(VALU_DEP_1) | instskip(NEXT) | instid1(VALU_DEP_1)
	v_dual_cndmask_b32 v150, v160, v150 :: v_dual_lshlrev_b32 v151, v151, v97
	v_and_b32_e32 v151, 3, v151
	v_lshlrev_b32_e32 v161, 24, v97
	s_delay_alu instid0(VALU_DEP_3) | instskip(NEXT) | instid1(VALU_DEP_2)
	v_lshl_add_u32 v150, v150, 23, 0x37800000
	v_dual_cndmask_b32 v20, v20, v151 :: v_dual_and_b32 v151, 0x80000000, v161
	s_delay_alu instid0(VALU_DEP_1) | instskip(NEXT) | instid1(VALU_DEP_1)
	v_lshlrev_b32_e32 v20, 21, v20
	v_or3_b32 v20, v151, v150, v20
.LBB0_269:                              ;   in Loop: Header=BB0_130 Depth=3
	s_or_b32 exec_lo, exec_lo, s21
	s_delay_alu instid0(VALU_DEP_1) | instskip(NEXT) | instid1(VALU_DEP_1)
	v_dual_max_f32 v20, v20, v20 :: v_dual_max_f32 v19, v19, v19
	v_max_f32_e32 v20, v19, v20
.LBB0_270:                              ;   in Loop: Header=BB0_130 Depth=3
	s_and_not1_saveexec_b32 s9, s9
	s_cbranch_execz .LBB0_280
; %bb.271:                              ;   in Loop: Header=BB0_130 Depth=3
	v_and_b32_e32 v20, 0xff, v21
	s_mov_b32 s10, 0
	s_mov_b32 s22, exec_lo
                                        ; implicit-def: $sgpr21
	s_delay_alu instid0(VALU_DEP_1)
	v_cmpx_lt_i16_e32 0x7f, v20
	s_xor_b32 s22, exec_lo, s22
	s_cbranch_execnz .LBB0_442
; %bb.272:                              ;   in Loop: Header=BB0_130 Depth=3
	s_or_saveexec_b32 s22, s22
	v_mov_b32_e32 v19, s21
	s_xor_b32 exec_lo, exec_lo, s22
	s_cbranch_execnz .LBB0_445
.LBB0_273:                              ;   in Loop: Header=BB0_130 Depth=3
	s_or_b32 exec_lo, exec_lo, s22
	s_and_saveexec_b32 s21, s10
	s_cbranch_execz .LBB0_275
.LBB0_274:                              ;   in Loop: Header=BB0_130 Depth=3
	v_bfe_u32 v151, v21, 2, 5
	s_delay_alu instid0(VALU_DEP_1) | instskip(SKIP_1) | instid1(VALU_DEP_1)
	v_cmp_eq_u32_e32 vcc_lo, 0, v151
	v_and_b32_e32 v19, 3, v21
	v_clz_i32_u32_e32 v20, v19
	s_delay_alu instid0(VALU_DEP_1) | instskip(NEXT) | instid1(VALU_DEP_1)
	v_min_u32_e32 v20, 32, v20
	v_subrev_nc_u32_e32 v150, 29, v20
	v_sub_nc_u32_e32 v20, 30, v20
	s_delay_alu instid0(VALU_DEP_2) | instskip(NEXT) | instid1(VALU_DEP_2)
	v_lshlrev_b32_e32 v150, v150, v21
	v_cndmask_b32_e32 v20, v151, v20, vcc_lo
	s_delay_alu instid0(VALU_DEP_2) | instskip(SKIP_1) | instid1(VALU_DEP_3)
	v_and_b32_e32 v150, 3, v150
	v_lshlrev_b32_e32 v160, 24, v21
	v_lshl_add_u32 v20, v20, 23, 0x37800000
	s_delay_alu instid0(VALU_DEP_2) | instskip(NEXT) | instid1(VALU_DEP_1)
	v_dual_cndmask_b32 v19, v19, v150 :: v_dual_and_b32 v150, 0x80000000, v160
	v_lshlrev_b32_e32 v19, 21, v19
	s_delay_alu instid0(VALU_DEP_1)
	v_or3_b32 v19, v150, v20, v19
.LBB0_275:                              ;   in Loop: Header=BB0_130 Depth=3
	s_or_b32 exec_lo, exec_lo, s21
	v_and_b32_e32 v150, 0xff, v97
	s_mov_b32 s10, 0
	s_mov_b32 s22, exec_lo
                                        ; implicit-def: $sgpr21
	s_delay_alu instid0(VALU_DEP_1)
	v_cmpx_lt_i16_e64 0x7f, v150
	s_xor_b32 s22, exec_lo, s22
	s_cbranch_execnz .LBB0_446
; %bb.276:                              ;   in Loop: Header=BB0_130 Depth=3
	s_or_saveexec_b32 s22, s22
	v_mov_b32_e32 v20, s21
	s_xor_b32 exec_lo, exec_lo, s22
	s_cbranch_execnz .LBB0_449
.LBB0_277:                              ;   in Loop: Header=BB0_130 Depth=3
	s_or_b32 exec_lo, exec_lo, s22
	s_and_saveexec_b32 s21, s10
	s_cbranch_execz .LBB0_279
.LBB0_278:                              ;   in Loop: Header=BB0_130 Depth=3
	v_and_b32_e32 v20, 3, v97
	v_bfe_u32 v160, v97, 2, 5
	s_delay_alu instid0(VALU_DEP_2) | instskip(NEXT) | instid1(VALU_DEP_2)
	v_clz_i32_u32_e32 v150, v20
	v_cmp_eq_u32_e32 vcc_lo, 0, v160
	s_delay_alu instid0(VALU_DEP_2) | instskip(NEXT) | instid1(VALU_DEP_1)
	v_min_u32_e32 v150, 32, v150
	v_subrev_nc_u32_e32 v151, 29, v150
	v_sub_nc_u32_e32 v150, 30, v150
	s_delay_alu instid0(VALU_DEP_1) | instskip(NEXT) | instid1(VALU_DEP_1)
	v_dual_cndmask_b32 v150, v160, v150 :: v_dual_lshlrev_b32 v151, v151, v97
	v_and_b32_e32 v151, 3, v151
	v_lshlrev_b32_e32 v161, 24, v97
	s_delay_alu instid0(VALU_DEP_3) | instskip(NEXT) | instid1(VALU_DEP_2)
	v_lshl_add_u32 v150, v150, 23, 0x37800000
	v_dual_cndmask_b32 v20, v20, v151 :: v_dual_and_b32 v151, 0x80000000, v161
	s_delay_alu instid0(VALU_DEP_1) | instskip(NEXT) | instid1(VALU_DEP_1)
	v_lshlrev_b32_e32 v20, 21, v20
	v_or3_b32 v20, v151, v150, v20
.LBB0_279:                              ;   in Loop: Header=BB0_130 Depth=3
	s_or_b32 exec_lo, exec_lo, s21
	s_delay_alu instid0(VALU_DEP_1) | instskip(NEXT) | instid1(VALU_DEP_1)
	v_dual_max_f32 v20, v20, v20 :: v_dual_max_f32 v19, v19, v19
	v_min_f32_e32 v20, v19, v20
.LBB0_280:                              ;   in Loop: Header=BB0_130 Depth=3
	s_or_b32 exec_lo, exec_lo, s9
	s_delay_alu instid0(VALU_DEP_1) | instskip(NEXT) | instid1(VALU_DEP_1)
	v_dual_mov_b32 v19, v21 :: v_dual_and_b32 v150, 0x7f800000, v20
	v_cmp_ne_u32_e32 vcc_lo, 0x7f800000, v150
	v_mov_b32_e32 v150, 0x80
	s_and_saveexec_b32 s10, vcc_lo
	s_cbranch_execz .LBB0_288
; %bb.281:                              ;   in Loop: Header=BB0_130 Depth=3
	v_mov_b32_e32 v150, 0
	s_mov_b32 s21, exec_lo
	v_cmpx_ne_u32_e32 0, v20
	s_cbranch_execz .LBB0_287
; %bb.282:                              ;   in Loop: Header=BB0_130 Depth=3
	v_bfe_u32 v150, v20, 23, 8
	v_and_b32_e32 v151, 0x7fffff, v20
	s_delay_alu instid0(VALU_DEP_2) | instskip(SKIP_1) | instid1(VALU_DEP_3)
	v_sub_nc_u32_e32 v160, 0x70, v150
	v_cmp_gt_u32_e32 vcc_lo, 0x71, v150
	v_or_b32_e32 v161, 0x800000, v151
	s_delay_alu instid0(VALU_DEP_3) | instskip(SKIP_1) | instid1(VALU_DEP_3)
	v_cndmask_b32_e32 v160, 0, v160, vcc_lo
	v_cmp_eq_u32_e32 vcc_lo, 0, v150
	v_dual_cndmask_b32 v151, v161, v151 :: v_dual_add_nc_u32 v150, 0xffffff91, v150
	s_delay_alu instid0(VALU_DEP_3) | instskip(NEXT) | instid1(VALU_DEP_2)
	v_cndmask_b32_e64 v160, v160, 0x6f, vcc_lo
	v_cndmask_b32_e64 v150, v150, 0xffffff92, vcc_lo
	s_delay_alu instid0(VALU_DEP_2) | instskip(SKIP_2) | instid1(VALU_DEP_4)
	v_lshrrev_b32_e32 v162, v160, v151
	v_lshl_add_u32 v161, 0x200000, v160, -1
	v_lshlrev_b32_e64 v164, v160, 0x100000
	v_add_nc_u32_e32 v160, v160, v150
	s_delay_alu instid0(VALU_DEP_4) | instskip(NEXT) | instid1(VALU_DEP_4)
	v_bfe_u32 v163, v162, 21, 1
	v_and_b32_e32 v151, v161, v151
	s_delay_alu instid0(VALU_DEP_2) | instskip(NEXT) | instid1(VALU_DEP_2)
	v_add_nc_u32_e32 v161, -1, v163
	v_cmp_eq_u32_e64 s9, v151, v164
	s_delay_alu instid0(VALU_DEP_1) | instskip(SKIP_2) | instid1(VALU_DEP_2)
	v_cndmask_b32_e64 v151, 0, v161, s9
	v_lshrrev_b32_e32 v161, 23, v162
	s_mov_b32 s9, exec_lo
	v_add_nc_u32_e32 v151, v151, v162
	s_delay_alu instid0(VALU_DEP_2) | instskip(NEXT) | instid1(VALU_DEP_2)
	v_xor_b32_e32 v161, 1, v161
	v_and_b32_e32 v150, 0x1fffff, v151
	s_delay_alu instid0(VALU_DEP_1) | instskip(NEXT) | instid1(VALU_DEP_3)
	v_add_nc_u32_e32 v151, v150, v162
                                        ; implicit-def: $vgpr150
	v_cmpx_ne_u32_e64 v160, v161
	s_xor_b32 s9, exec_lo, s9
; %bb.283:                              ;   in Loop: Header=BB0_130 Depth=3
	s_delay_alu instid0(VALU_DEP_2) | instskip(SKIP_2) | instid1(VALU_DEP_2)
	v_cmp_lt_u32_e32 vcc_lo, 0xffffff, v151
	v_sub_nc_u32_e32 v150, v160, v161
	v_cndmask_b32_e64 v160, 0, 1, vcc_lo
	v_add_co_ci_u32_e32 v150, vcc_lo, 0, v150, vcc_lo
	s_delay_alu instid0(VALU_DEP_2)
	v_lshrrev_b32_e32 v151, v160, v151
; %bb.284:                              ;   in Loop: Header=BB0_130 Depth=3
	s_and_not1_saveexec_b32 s9, s9
; %bb.285:                              ;   in Loop: Header=BB0_130 Depth=3
	s_delay_alu instid0(VALU_DEP_1)
	v_bfe_u32 v150, v151, 23, 1
; %bb.286:                              ;   in Loop: Header=BB0_130 Depth=3
	s_or_b32 exec_lo, exec_lo, s9
	v_lshrrev_b32_e32 v151, 21, v151
	s_delay_alu instid0(VALU_DEP_2) | instskip(SKIP_2) | instid1(VALU_DEP_2)
	v_cmp_gt_i32_e32 vcc_lo, 32, v150
	v_lshrrev_b32_e32 v20, 24, v20
	v_min_i32_e32 v160, 31, v150
	v_dual_cndmask_b32 v151, 3, v151 :: v_dual_and_b32 v20, 0x80, v20
	s_delay_alu instid0(VALU_DEP_2) | instskip(NEXT) | instid1(VALU_DEP_2)
	v_lshlrev_b32_e32 v160, 2, v160
	v_or_b32_e32 v150, v150, v151
	s_delay_alu instid0(VALU_DEP_1) | instskip(SKIP_1) | instid1(VALU_DEP_1)
	v_cmp_ne_u32_e32 vcc_lo, 0, v150
	v_and_b32_e32 v161, 3, v151
	v_or3_b32 v20, v160, v20, v161
	s_delay_alu instid0(VALU_DEP_1)
	v_cndmask_b32_e32 v150, 0, v20, vcc_lo
.LBB0_287:                              ;   in Loop: Header=BB0_130 Depth=3
	s_or_b32 exec_lo, exec_lo, s21
.LBB0_288:                              ;   in Loop: Header=BB0_130 Depth=3
	s_delay_alu instid0(SALU_CYCLE_1) | instskip(SKIP_3) | instid1(SALU_CYCLE_1)
	s_or_b32 exec_lo, exec_lo, s10
	v_lshrrev_b16 v160, 8, v19
	v_lshrrev_b16 v151, 8, v97
                                        ; implicit-def: $vgpr161
	s_and_saveexec_b32 s9, s6
	s_xor_b32 s9, exec_lo, s9
	s_cbranch_execz .LBB0_298
; %bb.289:                              ;   in Loop: Header=BB0_130 Depth=3
	s_mov_b32 s10, 0
	s_mov_b32 s22, exec_lo
                                        ; implicit-def: $sgpr21
	v_cmpx_lt_i16_e64 0x7f, v160
	s_xor_b32 s22, exec_lo, s22
	s_cbranch_execnz .LBB0_450
; %bb.290:                              ;   in Loop: Header=BB0_130 Depth=3
	s_or_saveexec_b32 s22, s22
	v_mov_b32_e32 v20, s21
	s_xor_b32 exec_lo, exec_lo, s22
	s_cbranch_execnz .LBB0_453
.LBB0_291:                              ;   in Loop: Header=BB0_130 Depth=3
	s_or_b32 exec_lo, exec_lo, s22
	s_and_saveexec_b32 s21, s10
	s_cbranch_execz .LBB0_293
.LBB0_292:                              ;   in Loop: Header=BB0_130 Depth=3
	v_and_b32_e32 v20, 0xffff, v160
	s_delay_alu instid0(VALU_DEP_1) | instskip(NEXT) | instid1(VALU_DEP_1)
	v_and_b32_e32 v160, 3, v20
	v_clz_i32_u32_e32 v161, v160
	s_delay_alu instid0(VALU_DEP_1) | instskip(NEXT) | instid1(VALU_DEP_1)
	v_min_u32_e32 v161, 32, v161
	v_subrev_nc_u32_e32 v162, 29, v161
	v_sub_nc_u32_e32 v161, 30, v161
	s_delay_alu instid0(VALU_DEP_2) | instskip(SKIP_1) | instid1(VALU_DEP_2)
	v_lshlrev_b32_e32 v162, v162, v20
	v_bfe_u32 v20, v20, 2, 5
	v_and_b32_e32 v162, 3, v162
	s_delay_alu instid0(VALU_DEP_2) | instskip(SKIP_1) | instid1(VALU_DEP_1)
	v_cmp_eq_u32_e32 vcc_lo, 0, v20
	v_dual_cndmask_b32 v20, v20, v161 :: v_dual_lshlrev_b32 v19, 16, v19
	v_dual_cndmask_b32 v160, v160, v162 :: v_dual_and_b32 v19, 0x80000000, v19
	s_delay_alu instid0(VALU_DEP_2) | instskip(NEXT) | instid1(VALU_DEP_2)
	v_lshl_add_u32 v20, v20, 23, 0x37800000
	v_lshlrev_b32_e32 v160, 21, v160
	s_delay_alu instid0(VALU_DEP_1)
	v_or3_b32 v20, v19, v20, v160
.LBB0_293:                              ;   in Loop: Header=BB0_130 Depth=3
	s_or_b32 exec_lo, exec_lo, s21
	s_mov_b32 s10, 0
	s_mov_b32 s22, exec_lo
                                        ; implicit-def: $sgpr21
	v_cmpx_lt_i16_e64 0x7f, v151
	s_xor_b32 s22, exec_lo, s22
	s_cbranch_execnz .LBB0_454
; %bb.294:                              ;   in Loop: Header=BB0_130 Depth=3
	s_or_saveexec_b32 s22, s22
	v_mov_b32_e32 v19, s21
	s_xor_b32 exec_lo, exec_lo, s22
	s_cbranch_execnz .LBB0_457
.LBB0_295:                              ;   in Loop: Header=BB0_130 Depth=3
	s_or_b32 exec_lo, exec_lo, s22
	s_and_saveexec_b32 s21, s10
	s_cbranch_execz .LBB0_297
.LBB0_296:                              ;   in Loop: Header=BB0_130 Depth=3
	v_and_b32_e32 v19, 0xffff, v151
	s_delay_alu instid0(VALU_DEP_1) | instskip(NEXT) | instid1(VALU_DEP_1)
	v_and_b32_e32 v151, 3, v19
	v_clz_i32_u32_e32 v160, v151
	s_delay_alu instid0(VALU_DEP_1) | instskip(NEXT) | instid1(VALU_DEP_1)
	v_min_u32_e32 v160, 32, v160
	v_subrev_nc_u32_e32 v161, 29, v160
	v_sub_nc_u32_e32 v160, 30, v160
	s_delay_alu instid0(VALU_DEP_2) | instskip(SKIP_1) | instid1(VALU_DEP_2)
	v_lshlrev_b32_e32 v161, v161, v19
	v_bfe_u32 v19, v19, 2, 5
	v_and_b32_e32 v161, 3, v161
	s_delay_alu instid0(VALU_DEP_2) | instskip(SKIP_1) | instid1(VALU_DEP_1)
	v_cmp_eq_u32_e32 vcc_lo, 0, v19
	v_dual_cndmask_b32 v19, v19, v160 :: v_dual_lshlrev_b32 v162, 16, v97
	v_dual_cndmask_b32 v151, v151, v161 :: v_dual_and_b32 v160, 0x80000000, v162
	s_delay_alu instid0(VALU_DEP_2) | instskip(NEXT) | instid1(VALU_DEP_2)
	v_lshl_add_u32 v19, v19, 23, 0x37800000
	v_lshlrev_b32_e32 v151, 21, v151
	s_delay_alu instid0(VALU_DEP_1)
	v_or3_b32 v19, v160, v19, v151
.LBB0_297:                              ;   in Loop: Header=BB0_130 Depth=3
	s_or_b32 exec_lo, exec_lo, s21
	s_delay_alu instid0(VALU_DEP_1) | instskip(NEXT) | instid1(VALU_DEP_1)
	v_dual_max_f32 v19, v19, v19 :: v_dual_max_f32 v20, v20, v20
                                        ; implicit-def: $vgpr151
                                        ; implicit-def: $vgpr160
	v_max_f32_e32 v161, v20, v19
                                        ; implicit-def: $vgpr19_vgpr20
.LBB0_298:                              ;   in Loop: Header=BB0_130 Depth=3
	s_and_not1_saveexec_b32 s9, s9
	s_cbranch_execz .LBB0_308
; %bb.299:                              ;   in Loop: Header=BB0_130 Depth=3
	s_mov_b32 s10, 0
	s_mov_b32 s22, exec_lo
                                        ; implicit-def: $sgpr21
	v_cmpx_lt_i16_e64 0x7f, v160
	s_xor_b32 s22, exec_lo, s22
	s_cbranch_execnz .LBB0_458
; %bb.300:                              ;   in Loop: Header=BB0_130 Depth=3
	s_or_saveexec_b32 s22, s22
	v_mov_b32_e32 v20, s21
	s_xor_b32 exec_lo, exec_lo, s22
	s_cbranch_execnz .LBB0_461
.LBB0_301:                              ;   in Loop: Header=BB0_130 Depth=3
	s_or_b32 exec_lo, exec_lo, s22
	s_and_saveexec_b32 s21, s10
	s_cbranch_execz .LBB0_303
.LBB0_302:                              ;   in Loop: Header=BB0_130 Depth=3
	v_and_b32_e32 v20, 0xffff, v160
	s_delay_alu instid0(VALU_DEP_1) | instskip(NEXT) | instid1(VALU_DEP_1)
	v_and_b32_e32 v160, 3, v20
	v_clz_i32_u32_e32 v161, v160
	s_delay_alu instid0(VALU_DEP_1) | instskip(NEXT) | instid1(VALU_DEP_1)
	v_min_u32_e32 v161, 32, v161
	v_subrev_nc_u32_e32 v162, 29, v161
	v_sub_nc_u32_e32 v161, 30, v161
	s_delay_alu instid0(VALU_DEP_2) | instskip(SKIP_1) | instid1(VALU_DEP_2)
	v_lshlrev_b32_e32 v162, v162, v20
	v_bfe_u32 v20, v20, 2, 5
	v_and_b32_e32 v162, 3, v162
	s_delay_alu instid0(VALU_DEP_2) | instskip(SKIP_1) | instid1(VALU_DEP_1)
	v_cmp_eq_u32_e32 vcc_lo, 0, v20
	v_dual_cndmask_b32 v20, v20, v161 :: v_dual_lshlrev_b32 v19, 16, v19
	v_dual_cndmask_b32 v160, v160, v162 :: v_dual_and_b32 v19, 0x80000000, v19
	s_delay_alu instid0(VALU_DEP_2) | instskip(NEXT) | instid1(VALU_DEP_2)
	v_lshl_add_u32 v20, v20, 23, 0x37800000
	v_lshlrev_b32_e32 v160, 21, v160
	s_delay_alu instid0(VALU_DEP_1)
	v_or3_b32 v20, v19, v20, v160
.LBB0_303:                              ;   in Loop: Header=BB0_130 Depth=3
	s_or_b32 exec_lo, exec_lo, s21
	s_mov_b32 s10, 0
	s_mov_b32 s22, exec_lo
                                        ; implicit-def: $sgpr21
	v_cmpx_lt_i16_e64 0x7f, v151
	s_xor_b32 s22, exec_lo, s22
	s_cbranch_execnz .LBB0_462
; %bb.304:                              ;   in Loop: Header=BB0_130 Depth=3
	s_or_saveexec_b32 s22, s22
	v_mov_b32_e32 v19, s21
	s_xor_b32 exec_lo, exec_lo, s22
	s_cbranch_execnz .LBB0_465
.LBB0_305:                              ;   in Loop: Header=BB0_130 Depth=3
	s_or_b32 exec_lo, exec_lo, s22
	s_and_saveexec_b32 s21, s10
	s_cbranch_execz .LBB0_307
.LBB0_306:                              ;   in Loop: Header=BB0_130 Depth=3
	v_and_b32_e32 v19, 0xffff, v151
	s_delay_alu instid0(VALU_DEP_1) | instskip(NEXT) | instid1(VALU_DEP_1)
	v_and_b32_e32 v151, 3, v19
	v_clz_i32_u32_e32 v160, v151
	s_delay_alu instid0(VALU_DEP_1) | instskip(NEXT) | instid1(VALU_DEP_1)
	v_min_u32_e32 v160, 32, v160
	v_subrev_nc_u32_e32 v161, 29, v160
	v_sub_nc_u32_e32 v160, 30, v160
	s_delay_alu instid0(VALU_DEP_2) | instskip(SKIP_1) | instid1(VALU_DEP_2)
	v_lshlrev_b32_e32 v161, v161, v19
	v_bfe_u32 v19, v19, 2, 5
	v_and_b32_e32 v161, 3, v161
	s_delay_alu instid0(VALU_DEP_2) | instskip(SKIP_1) | instid1(VALU_DEP_1)
	v_cmp_eq_u32_e32 vcc_lo, 0, v19
	v_dual_cndmask_b32 v19, v19, v160 :: v_dual_lshlrev_b32 v162, 16, v97
	v_dual_cndmask_b32 v151, v151, v161 :: v_dual_and_b32 v160, 0x80000000, v162
	s_delay_alu instid0(VALU_DEP_2) | instskip(NEXT) | instid1(VALU_DEP_2)
	v_lshl_add_u32 v19, v19, 23, 0x37800000
	v_lshlrev_b32_e32 v151, 21, v151
	s_delay_alu instid0(VALU_DEP_1)
	v_or3_b32 v19, v160, v19, v151
.LBB0_307:                              ;   in Loop: Header=BB0_130 Depth=3
	s_or_b32 exec_lo, exec_lo, s21
	s_delay_alu instid0(VALU_DEP_1) | instskip(NEXT) | instid1(VALU_DEP_1)
	v_dual_max_f32 v19, v19, v19 :: v_dual_max_f32 v20, v20, v20
	v_min_f32_e32 v161, v20, v19
.LBB0_308:                              ;   in Loop: Header=BB0_130 Depth=3
	s_or_b32 exec_lo, exec_lo, s9
	s_delay_alu instid0(VALU_DEP_1) | instskip(NEXT) | instid1(VALU_DEP_1)
	v_and_b32_e32 v19, 0x7f800000, v161
	v_cmp_ne_u32_e32 vcc_lo, 0x7f800000, v19
	v_mov_b32_e32 v19, 0x80
	s_and_saveexec_b32 s10, vcc_lo
	s_cbranch_execz .LBB0_316
; %bb.309:                              ;   in Loop: Header=BB0_130 Depth=3
	v_mov_b32_e32 v19, 0
	s_mov_b32 s21, exec_lo
	v_cmpx_ne_u32_e32 0, v161
	s_cbranch_execz .LBB0_315
; %bb.310:                              ;   in Loop: Header=BB0_130 Depth=3
	v_bfe_u32 v19, v161, 23, 8
	s_delay_alu instid0(VALU_DEP_1) | instskip(SKIP_1) | instid1(VALU_DEP_2)
	v_sub_nc_u32_e32 v151, 0x70, v19
	v_cmp_gt_u32_e32 vcc_lo, 0x71, v19
	v_dual_cndmask_b32 v151, 0, v151 :: v_dual_and_b32 v20, 0x7fffff, v161
	s_delay_alu instid0(VALU_DEP_1) | instskip(SKIP_2) | instid1(VALU_DEP_4)
	v_or_b32_e32 v160, 0x800000, v20
	v_cmp_eq_u32_e32 vcc_lo, 0, v19
	v_add_nc_u32_e32 v19, 0xffffff91, v19
	v_cndmask_b32_e64 v151, v151, 0x6f, vcc_lo
	s_delay_alu instid0(VALU_DEP_4) | instskip(NEXT) | instid1(VALU_DEP_3)
	v_cndmask_b32_e32 v20, v160, v20, vcc_lo
	v_cndmask_b32_e64 v19, v19, 0xffffff92, vcc_lo
	s_delay_alu instid0(VALU_DEP_3) | instskip(NEXT) | instid1(VALU_DEP_3)
	v_lshl_add_u32 v160, 0x200000, v151, -1
	v_lshrrev_b32_e32 v162, v151, v20
	v_lshlrev_b32_e64 v164, v151, 0x100000
	s_delay_alu instid0(VALU_DEP_4) | instskip(NEXT) | instid1(VALU_DEP_4)
	v_add_nc_u32_e32 v151, v151, v19
	v_and_b32_e32 v20, v160, v20
	s_delay_alu instid0(VALU_DEP_4) | instskip(NEXT) | instid1(VALU_DEP_2)
	v_bfe_u32 v163, v162, 21, 1
	v_cmp_eq_u32_e64 s9, v20, v164
	s_delay_alu instid0(VALU_DEP_2) | instskip(NEXT) | instid1(VALU_DEP_1)
	v_add_nc_u32_e32 v160, -1, v163
	v_cndmask_b32_e64 v20, 0, v160, s9
	v_lshrrev_b32_e32 v160, 23, v162
	s_mov_b32 s9, exec_lo
	s_delay_alu instid0(VALU_DEP_2) | instskip(NEXT) | instid1(VALU_DEP_2)
	v_add_nc_u32_e32 v20, v20, v162
	v_xor_b32_e32 v160, 1, v160
	s_delay_alu instid0(VALU_DEP_2) | instskip(NEXT) | instid1(VALU_DEP_1)
	v_and_b32_e32 v19, 0x1fffff, v20
	v_add_nc_u32_e32 v20, v19, v162
                                        ; implicit-def: $vgpr19
	s_delay_alu instid0(VALU_DEP_3)
	v_cmpx_ne_u32_e64 v151, v160
	s_xor_b32 s9, exec_lo, s9
; %bb.311:                              ;   in Loop: Header=BB0_130 Depth=3
	s_delay_alu instid0(VALU_DEP_2) | instskip(SKIP_2) | instid1(VALU_DEP_2)
	v_cmp_lt_u32_e32 vcc_lo, 0xffffff, v20
	v_sub_nc_u32_e32 v19, v151, v160
	v_cndmask_b32_e64 v151, 0, 1, vcc_lo
	v_add_co_ci_u32_e32 v19, vcc_lo, 0, v19, vcc_lo
	s_delay_alu instid0(VALU_DEP_2)
	v_lshrrev_b32_e32 v20, v151, v20
; %bb.312:                              ;   in Loop: Header=BB0_130 Depth=3
	s_and_not1_saveexec_b32 s9, s9
; %bb.313:                              ;   in Loop: Header=BB0_130 Depth=3
	s_delay_alu instid0(VALU_DEP_1)
	v_bfe_u32 v19, v20, 23, 1
; %bb.314:                              ;   in Loop: Header=BB0_130 Depth=3
	s_or_b32 exec_lo, exec_lo, s9
	v_lshrrev_b32_e32 v20, 21, v20
	s_delay_alu instid0(VALU_DEP_2) | instskip(SKIP_2) | instid1(VALU_DEP_2)
	v_cmp_gt_i32_e32 vcc_lo, 32, v19
	v_lshrrev_b32_e32 v151, 24, v161
	v_min_i32_e32 v160, 31, v19
	v_dual_cndmask_b32 v20, 3, v20 :: v_dual_and_b32 v151, 0x80, v151
	s_delay_alu instid0(VALU_DEP_2) | instskip(NEXT) | instid1(VALU_DEP_2)
	v_lshlrev_b32_e32 v160, 2, v160
	v_and_b32_e32 v161, 3, v20
	v_or_b32_e32 v19, v19, v20
	s_delay_alu instid0(VALU_DEP_2) | instskip(NEXT) | instid1(VALU_DEP_2)
	v_or3_b32 v20, v160, v151, v161
	v_cmp_ne_u32_e32 vcc_lo, 0, v19
	s_delay_alu instid0(VALU_DEP_2)
	v_cndmask_b32_e32 v19, 0, v20, vcc_lo
.LBB0_315:                              ;   in Loop: Header=BB0_130 Depth=3
	s_or_b32 exec_lo, exec_lo, s21
.LBB0_316:                              ;   in Loop: Header=BB0_130 Depth=3
	s_delay_alu instid0(SALU_CYCLE_1) | instskip(SKIP_3) | instid1(SALU_CYCLE_1)
	s_or_b32 exec_lo, exec_lo, s10
	v_lshrrev_b32_e32 v151, 16, v21
	v_lshrrev_b32_e32 v20, 16, v97
                                        ; implicit-def: $vgpr160
	s_and_saveexec_b32 s9, s6
	s_xor_b32 s9, exec_lo, s9
	s_cbranch_execz .LBB0_326
; %bb.317:                              ;   in Loop: Header=BB0_130 Depth=3
	v_and_b32_e32 v161, 0xff, v151
	s_mov_b32 s10, 0
	s_mov_b32 s22, exec_lo
                                        ; implicit-def: $sgpr21
	s_delay_alu instid0(VALU_DEP_1)
	v_cmpx_lt_i16_e64 0x7f, v161
	s_xor_b32 s22, exec_lo, s22
	s_cbranch_execnz .LBB0_466
; %bb.318:                              ;   in Loop: Header=BB0_130 Depth=3
	s_or_saveexec_b32 s22, s22
	v_mov_b32_e32 v160, s21
	s_xor_b32 exec_lo, exec_lo, s22
	s_cbranch_execnz .LBB0_469
.LBB0_319:                              ;   in Loop: Header=BB0_130 Depth=3
	s_or_b32 exec_lo, exec_lo, s22
	s_and_saveexec_b32 s21, s10
	s_cbranch_execz .LBB0_321
.LBB0_320:                              ;   in Loop: Header=BB0_130 Depth=3
	v_bfe_u32 v160, v21, 16, 2
	v_bfe_u32 v163, v21, 18, 5
	s_delay_alu instid0(VALU_DEP_2) | instskip(NEXT) | instid1(VALU_DEP_2)
	v_clz_i32_u32_e32 v161, v160
	v_cmp_eq_u32_e32 vcc_lo, 0, v163
	s_delay_alu instid0(VALU_DEP_2) | instskip(NEXT) | instid1(VALU_DEP_1)
	v_min_u32_e32 v161, 32, v161
	v_subrev_nc_u32_e32 v162, 29, v161
	v_sub_nc_u32_e32 v161, 30, v161
	s_delay_alu instid0(VALU_DEP_1) | instskip(NEXT) | instid1(VALU_DEP_1)
	v_dual_cndmask_b32 v161, v163, v161 :: v_dual_lshlrev_b32 v162, v162, v151
	v_and_b32_e32 v162, 3, v162
	v_lshlrev_b32_e32 v151, 24, v151
	s_delay_alu instid0(VALU_DEP_3) | instskip(NEXT) | instid1(VALU_DEP_2)
	v_lshl_add_u32 v161, v161, 23, 0x37800000
	v_dual_cndmask_b32 v160, v160, v162 :: v_dual_and_b32 v151, 0x80000000, v151
	s_delay_alu instid0(VALU_DEP_1) | instskip(NEXT) | instid1(VALU_DEP_1)
	v_lshlrev_b32_e32 v160, 21, v160
	v_or3_b32 v160, v151, v161, v160
.LBB0_321:                              ;   in Loop: Header=BB0_130 Depth=3
	s_or_b32 exec_lo, exec_lo, s21
	v_and_b32_e32 v161, 0xff, v20
	s_mov_b32 s10, 0
	s_mov_b32 s22, exec_lo
                                        ; implicit-def: $sgpr21
	s_delay_alu instid0(VALU_DEP_1)
	v_cmpx_lt_i16_e64 0x7f, v161
	s_xor_b32 s22, exec_lo, s22
	s_cbranch_execnz .LBB0_470
; %bb.322:                              ;   in Loop: Header=BB0_130 Depth=3
	s_or_saveexec_b32 s22, s22
	v_mov_b32_e32 v151, s21
	s_xor_b32 exec_lo, exec_lo, s22
	s_cbranch_execnz .LBB0_473
.LBB0_323:                              ;   in Loop: Header=BB0_130 Depth=3
	s_or_b32 exec_lo, exec_lo, s22
	s_and_saveexec_b32 s21, s10
	s_cbranch_execz .LBB0_325
.LBB0_324:                              ;   in Loop: Header=BB0_130 Depth=3
	v_bfe_u32 v151, v97, 16, 2
	v_bfe_u32 v163, v97, 18, 5
	s_delay_alu instid0(VALU_DEP_2) | instskip(NEXT) | instid1(VALU_DEP_2)
	v_clz_i32_u32_e32 v161, v151
	v_cmp_eq_u32_e32 vcc_lo, 0, v163
	s_delay_alu instid0(VALU_DEP_2) | instskip(NEXT) | instid1(VALU_DEP_1)
	v_min_u32_e32 v161, 32, v161
	v_subrev_nc_u32_e32 v162, 29, v161
	v_sub_nc_u32_e32 v161, 30, v161
	s_delay_alu instid0(VALU_DEP_1) | instskip(NEXT) | instid1(VALU_DEP_1)
	v_dual_cndmask_b32 v161, v163, v161 :: v_dual_lshlrev_b32 v162, v162, v20
	v_and_b32_e32 v162, 3, v162
	v_lshlrev_b32_e32 v20, 24, v20
	s_delay_alu instid0(VALU_DEP_3) | instskip(NEXT) | instid1(VALU_DEP_2)
	v_lshl_add_u32 v161, v161, 23, 0x37800000
	v_dual_cndmask_b32 v151, v151, v162 :: v_dual_and_b32 v20, 0x80000000, v20
	s_delay_alu instid0(VALU_DEP_1) | instskip(NEXT) | instid1(VALU_DEP_1)
	v_lshlrev_b32_e32 v151, 21, v151
	v_or3_b32 v151, v20, v161, v151
.LBB0_325:                              ;   in Loop: Header=BB0_130 Depth=3
	s_or_b32 exec_lo, exec_lo, s21
	s_delay_alu instid0(VALU_DEP_1) | instskip(NEXT) | instid1(VALU_DEP_1)
	v_dual_max_f32 v20, v151, v151 :: v_dual_max_f32 v151, v160, v160
	v_max_f32_e32 v160, v151, v20
                                        ; implicit-def: $vgpr20
                                        ; implicit-def: $vgpr151
.LBB0_326:                              ;   in Loop: Header=BB0_130 Depth=3
	s_and_not1_saveexec_b32 s9, s9
	s_cbranch_execz .LBB0_336
; %bb.327:                              ;   in Loop: Header=BB0_130 Depth=3
	v_and_b32_e32 v161, 0xff, v151
	s_mov_b32 s10, 0
	s_mov_b32 s22, exec_lo
                                        ; implicit-def: $sgpr21
	s_delay_alu instid0(VALU_DEP_1)
	v_cmpx_lt_i16_e64 0x7f, v161
	s_xor_b32 s22, exec_lo, s22
	s_cbranch_execnz .LBB0_474
; %bb.328:                              ;   in Loop: Header=BB0_130 Depth=3
	s_or_saveexec_b32 s22, s22
	v_mov_b32_e32 v160, s21
	s_xor_b32 exec_lo, exec_lo, s22
	s_cbranch_execnz .LBB0_477
.LBB0_329:                              ;   in Loop: Header=BB0_130 Depth=3
	s_or_b32 exec_lo, exec_lo, s22
	s_and_saveexec_b32 s21, s10
	s_cbranch_execz .LBB0_331
.LBB0_330:                              ;   in Loop: Header=BB0_130 Depth=3
	v_bfe_u32 v160, v21, 16, 2
	v_bfe_u32 v163, v21, 18, 5
	s_delay_alu instid0(VALU_DEP_2) | instskip(NEXT) | instid1(VALU_DEP_2)
	v_clz_i32_u32_e32 v161, v160
	v_cmp_eq_u32_e32 vcc_lo, 0, v163
	s_delay_alu instid0(VALU_DEP_2) | instskip(NEXT) | instid1(VALU_DEP_1)
	v_min_u32_e32 v161, 32, v161
	v_subrev_nc_u32_e32 v162, 29, v161
	v_sub_nc_u32_e32 v161, 30, v161
	s_delay_alu instid0(VALU_DEP_1) | instskip(NEXT) | instid1(VALU_DEP_1)
	v_dual_cndmask_b32 v161, v163, v161 :: v_dual_lshlrev_b32 v162, v162, v151
	v_and_b32_e32 v162, 3, v162
	v_lshlrev_b32_e32 v151, 24, v151
	s_delay_alu instid0(VALU_DEP_3) | instskip(NEXT) | instid1(VALU_DEP_2)
	v_lshl_add_u32 v161, v161, 23, 0x37800000
	v_dual_cndmask_b32 v160, v160, v162 :: v_dual_and_b32 v151, 0x80000000, v151
	s_delay_alu instid0(VALU_DEP_1) | instskip(NEXT) | instid1(VALU_DEP_1)
	v_lshlrev_b32_e32 v160, 21, v160
	v_or3_b32 v160, v151, v161, v160
.LBB0_331:                              ;   in Loop: Header=BB0_130 Depth=3
	s_or_b32 exec_lo, exec_lo, s21
	v_and_b32_e32 v161, 0xff, v20
	s_mov_b32 s10, 0
	s_mov_b32 s22, exec_lo
                                        ; implicit-def: $sgpr21
	s_delay_alu instid0(VALU_DEP_1)
	v_cmpx_lt_i16_e64 0x7f, v161
	s_xor_b32 s22, exec_lo, s22
	s_cbranch_execnz .LBB0_478
; %bb.332:                              ;   in Loop: Header=BB0_130 Depth=3
	s_or_saveexec_b32 s22, s22
	v_mov_b32_e32 v151, s21
	s_xor_b32 exec_lo, exec_lo, s22
	s_cbranch_execnz .LBB0_481
.LBB0_333:                              ;   in Loop: Header=BB0_130 Depth=3
	s_or_b32 exec_lo, exec_lo, s22
	s_and_saveexec_b32 s21, s10
	s_cbranch_execz .LBB0_335
.LBB0_334:                              ;   in Loop: Header=BB0_130 Depth=3
	v_bfe_u32 v151, v97, 16, 2
	v_bfe_u32 v163, v97, 18, 5
	s_delay_alu instid0(VALU_DEP_2) | instskip(NEXT) | instid1(VALU_DEP_2)
	v_clz_i32_u32_e32 v161, v151
	v_cmp_eq_u32_e32 vcc_lo, 0, v163
	s_delay_alu instid0(VALU_DEP_2) | instskip(NEXT) | instid1(VALU_DEP_1)
	v_min_u32_e32 v161, 32, v161
	v_subrev_nc_u32_e32 v162, 29, v161
	v_sub_nc_u32_e32 v161, 30, v161
	s_delay_alu instid0(VALU_DEP_1) | instskip(NEXT) | instid1(VALU_DEP_1)
	v_dual_cndmask_b32 v161, v163, v161 :: v_dual_lshlrev_b32 v162, v162, v20
	v_and_b32_e32 v162, 3, v162
	v_lshlrev_b32_e32 v20, 24, v20
	s_delay_alu instid0(VALU_DEP_3) | instskip(NEXT) | instid1(VALU_DEP_2)
	v_lshl_add_u32 v161, v161, 23, 0x37800000
	v_dual_cndmask_b32 v151, v151, v162 :: v_dual_and_b32 v20, 0x80000000, v20
	s_delay_alu instid0(VALU_DEP_1) | instskip(NEXT) | instid1(VALU_DEP_1)
	v_lshlrev_b32_e32 v151, 21, v151
	v_or3_b32 v151, v20, v161, v151
.LBB0_335:                              ;   in Loop: Header=BB0_130 Depth=3
	s_or_b32 exec_lo, exec_lo, s21
	s_delay_alu instid0(VALU_DEP_1) | instskip(NEXT) | instid1(VALU_DEP_1)
	v_dual_max_f32 v20, v151, v151 :: v_dual_max_f32 v151, v160, v160
	v_min_f32_e32 v160, v151, v20
.LBB0_336:                              ;   in Loop: Header=BB0_130 Depth=3
	s_or_b32 exec_lo, exec_lo, s9
	s_delay_alu instid0(VALU_DEP_1) | instskip(SKIP_2) | instid1(VALU_DEP_2)
	v_and_b32_e32 v20, 0x7f800000, v160
	v_mov_b32_e32 v151, 0x80
	s_mov_b32 s10, exec_lo
	v_cmpx_ne_u32_e32 0x7f800000, v20
	s_cbranch_execz .LBB0_344
; %bb.337:                              ;   in Loop: Header=BB0_130 Depth=3
	v_mov_b32_e32 v151, 0
	s_mov_b32 s21, exec_lo
	v_cmpx_ne_u32_e32 0, v160
	s_cbranch_execz .LBB0_343
; %bb.338:                              ;   in Loop: Header=BB0_130 Depth=3
	v_bfe_u32 v20, v160, 23, 8
	v_and_b32_e32 v151, 0x7fffff, v160
	s_delay_alu instid0(VALU_DEP_2) | instskip(SKIP_1) | instid1(VALU_DEP_3)
	v_sub_nc_u32_e32 v161, 0x70, v20
	v_cmp_gt_u32_e32 vcc_lo, 0x71, v20
	v_or_b32_e32 v162, 0x800000, v151
	s_delay_alu instid0(VALU_DEP_3) | instskip(SKIP_2) | instid1(VALU_DEP_3)
	v_cndmask_b32_e32 v161, 0, v161, vcc_lo
	v_cmp_eq_u32_e32 vcc_lo, 0, v20
	v_add_nc_u32_e32 v20, 0xffffff91, v20
	v_cndmask_b32_e64 v161, v161, 0x6f, vcc_lo
	v_cndmask_b32_e32 v151, v162, v151, vcc_lo
	s_delay_alu instid0(VALU_DEP_3) | instskip(NEXT) | instid1(VALU_DEP_3)
	v_cndmask_b32_e64 v20, v20, 0xffffff92, vcc_lo
	v_lshl_add_u32 v162, 0x200000, v161, -1
	s_delay_alu instid0(VALU_DEP_3) | instskip(SKIP_1) | instid1(VALU_DEP_4)
	v_lshrrev_b32_e32 v163, v161, v151
	v_lshlrev_b32_e64 v165, v161, 0x100000
	v_add_nc_u32_e32 v161, v161, v20
	s_delay_alu instid0(VALU_DEP_4) | instskip(NEXT) | instid1(VALU_DEP_4)
	v_and_b32_e32 v151, v162, v151
	v_bfe_u32 v164, v163, 21, 1
	s_delay_alu instid0(VALU_DEP_2) | instskip(NEXT) | instid1(VALU_DEP_2)
	v_cmp_eq_u32_e64 s9, v151, v165
	v_add_nc_u32_e32 v162, -1, v164
	s_delay_alu instid0(VALU_DEP_1) | instskip(SKIP_2) | instid1(VALU_DEP_2)
	v_cndmask_b32_e64 v151, 0, v162, s9
	v_lshrrev_b32_e32 v162, 23, v163
	s_mov_b32 s9, exec_lo
	v_add_nc_u32_e32 v151, v151, v163
	s_delay_alu instid0(VALU_DEP_2) | instskip(NEXT) | instid1(VALU_DEP_2)
	v_xor_b32_e32 v162, 1, v162
	v_and_b32_e32 v20, 0x1fffff, v151
	s_delay_alu instid0(VALU_DEP_1) | instskip(NEXT) | instid1(VALU_DEP_3)
	v_add_nc_u32_e32 v151, v20, v163
                                        ; implicit-def: $vgpr20
	v_cmpx_ne_u32_e64 v161, v162
	s_xor_b32 s9, exec_lo, s9
; %bb.339:                              ;   in Loop: Header=BB0_130 Depth=3
	s_delay_alu instid0(VALU_DEP_2) | instskip(SKIP_2) | instid1(VALU_DEP_2)
	v_cmp_lt_u32_e32 vcc_lo, 0xffffff, v151
	v_sub_nc_u32_e32 v20, v161, v162
	v_cndmask_b32_e64 v161, 0, 1, vcc_lo
	v_add_co_ci_u32_e32 v20, vcc_lo, 0, v20, vcc_lo
	s_delay_alu instid0(VALU_DEP_2)
	v_lshrrev_b32_e32 v151, v161, v151
; %bb.340:                              ;   in Loop: Header=BB0_130 Depth=3
	s_and_not1_saveexec_b32 s9, s9
; %bb.341:                              ;   in Loop: Header=BB0_130 Depth=3
	s_delay_alu instid0(VALU_DEP_1)
	v_bfe_u32 v20, v151, 23, 1
; %bb.342:                              ;   in Loop: Header=BB0_130 Depth=3
	s_or_b32 exec_lo, exec_lo, s9
	v_lshrrev_b32_e32 v151, 21, v151
	s_delay_alu instid0(VALU_DEP_2) | instskip(SKIP_2) | instid1(VALU_DEP_3)
	v_min_i32_e32 v161, 31, v20
	v_cmp_gt_i32_e32 vcc_lo, 32, v20
	v_lshrrev_b32_e32 v160, 24, v160
	v_lshlrev_b32_e32 v161, 2, v161
	s_delay_alu instid0(VALU_DEP_2) | instskip(NEXT) | instid1(VALU_DEP_2)
	v_dual_cndmask_b32 v151, 3, v151 :: v_dual_and_b32 v160, 0x80, v160
	v_and_b32_e32 v161, 0xfc, v161
	s_delay_alu instid0(VALU_DEP_2) | instskip(SKIP_1) | instid1(VALU_DEP_2)
	v_and_b32_e32 v162, 3, v151
	v_or_b32_e32 v20, v20, v151
	v_or3_b32 v151, v161, v160, v162
	s_delay_alu instid0(VALU_DEP_2) | instskip(NEXT) | instid1(VALU_DEP_2)
	v_cmp_ne_u32_e32 vcc_lo, 0, v20
	v_cndmask_b32_e32 v151, 0, v151, vcc_lo
.LBB0_343:                              ;   in Loop: Header=BB0_130 Depth=3
	s_or_b32 exec_lo, exec_lo, s21
.LBB0_344:                              ;   in Loop: Header=BB0_130 Depth=3
	s_delay_alu instid0(SALU_CYCLE_1) | instskip(SKIP_3) | instid1(SALU_CYCLE_1)
	s_or_b32 exec_lo, exec_lo, s10
	v_lshrrev_b32_e32 v20, 24, v21
	v_lshrrev_b32_e32 v160, 24, v97
                                        ; implicit-def: $vgpr161
	s_and_saveexec_b32 s9, s6
	s_xor_b32 s9, exec_lo, s9
	s_cbranch_execz .LBB0_354
; %bb.345:                              ;   in Loop: Header=BB0_130 Depth=3
	s_mov_b32 s10, 0
	s_mov_b32 s22, exec_lo
                                        ; implicit-def: $sgpr21
	v_cmpx_lt_i16_e32 0x7f, v20
	s_xor_b32 s22, exec_lo, s22
	s_cbranch_execnz .LBB0_482
; %bb.346:                              ;   in Loop: Header=BB0_130 Depth=3
	s_or_saveexec_b32 s22, s22
	v_mov_b32_e32 v161, s21
	s_xor_b32 exec_lo, exec_lo, s22
	s_cbranch_execnz .LBB0_485
.LBB0_347:                              ;   in Loop: Header=BB0_130 Depth=3
	s_or_b32 exec_lo, exec_lo, s22
	s_and_saveexec_b32 s21, s10
	s_cbranch_execz .LBB0_349
.LBB0_348:                              ;   in Loop: Header=BB0_130 Depth=3
	v_bfe_u32 v161, v21, 24, 2
	s_delay_alu instid0(VALU_DEP_1) | instskip(NEXT) | instid1(VALU_DEP_1)
	v_clz_i32_u32_e32 v162, v161
	v_min_u32_e32 v162, 32, v162
	s_delay_alu instid0(VALU_DEP_1) | instskip(SKIP_1) | instid1(VALU_DEP_2)
	v_subrev_nc_u32_e32 v163, 29, v162
	v_sub_nc_u32_e32 v162, 30, v162
	v_lshlrev_b32_e32 v20, v163, v20
	v_bfe_u32 v163, v21, 26, 5
	v_and_b32_e32 v21, 0x80000000, v21
	s_delay_alu instid0(VALU_DEP_3) | instskip(NEXT) | instid1(VALU_DEP_3)
	v_and_b32_e32 v20, 3, v20
	v_cmp_eq_u32_e32 vcc_lo, 0, v163
	v_cndmask_b32_e32 v162, v163, v162, vcc_lo
	s_delay_alu instid0(VALU_DEP_3) | instskip(NEXT) | instid1(VALU_DEP_2)
	v_cndmask_b32_e32 v20, v161, v20, vcc_lo
	v_lshl_add_u32 v161, v162, 23, 0x37800000
	s_delay_alu instid0(VALU_DEP_2) | instskip(NEXT) | instid1(VALU_DEP_1)
	v_lshlrev_b32_e32 v20, 21, v20
	v_or3_b32 v161, v21, v161, v20
.LBB0_349:                              ;   in Loop: Header=BB0_130 Depth=3
	s_or_b32 exec_lo, exec_lo, s21
	s_mov_b32 s10, 0
	s_mov_b32 s22, exec_lo
                                        ; implicit-def: $sgpr21
	v_cmpx_lt_i16_e64 0x7f, v160
	s_xor_b32 s22, exec_lo, s22
	s_cbranch_execnz .LBB0_486
; %bb.350:                              ;   in Loop: Header=BB0_130 Depth=3
	s_or_saveexec_b32 s22, s22
	v_mov_b32_e32 v20, s21
	s_xor_b32 exec_lo, exec_lo, s22
	s_cbranch_execnz .LBB0_489
.LBB0_351:                              ;   in Loop: Header=BB0_130 Depth=3
	s_or_b32 exec_lo, exec_lo, s22
	s_and_saveexec_b32 s21, s10
	s_cbranch_execz .LBB0_353
.LBB0_352:                              ;   in Loop: Header=BB0_130 Depth=3
	v_bfe_u32 v20, v97, 24, 2
	s_delay_alu instid0(VALU_DEP_1) | instskip(NEXT) | instid1(VALU_DEP_1)
	v_clz_i32_u32_e32 v21, v20
	v_min_u32_e32 v21, 32, v21
	s_delay_alu instid0(VALU_DEP_1) | instskip(SKIP_1) | instid1(VALU_DEP_2)
	v_subrev_nc_u32_e32 v162, 29, v21
	v_sub_nc_u32_e32 v21, 30, v21
	v_lshlrev_b32_e32 v160, v162, v160
	v_bfe_u32 v162, v97, 26, 5
	v_and_b32_e32 v97, 0x80000000, v97
	s_delay_alu instid0(VALU_DEP_2) | instskip(NEXT) | instid1(VALU_DEP_4)
	v_cmp_eq_u32_e32 vcc_lo, 0, v162
	v_dual_cndmask_b32 v21, v162, v21 :: v_dual_and_b32 v160, 3, v160
	s_delay_alu instid0(VALU_DEP_1) | instskip(NEXT) | instid1(VALU_DEP_2)
	v_cndmask_b32_e32 v20, v20, v160, vcc_lo
	v_lshl_add_u32 v21, v21, 23, 0x37800000
	s_delay_alu instid0(VALU_DEP_2) | instskip(NEXT) | instid1(VALU_DEP_1)
	v_lshlrev_b32_e32 v20, 21, v20
	v_or3_b32 v20, v97, v21, v20
.LBB0_353:                              ;   in Loop: Header=BB0_130 Depth=3
	s_or_b32 exec_lo, exec_lo, s21
	s_delay_alu instid0(VALU_DEP_1) | instskip(NEXT) | instid1(VALU_DEP_1)
	v_dual_max_f32 v20, v20, v20 :: v_dual_max_f32 v21, v161, v161
                                        ; implicit-def: $vgpr97
                                        ; implicit-def: $vgpr160
	v_max_f32_e32 v161, v21, v20
                                        ; implicit-def: $vgpr20_vgpr21
                                        ; implicit-def: $vgpr20
.LBB0_354:                              ;   in Loop: Header=BB0_130 Depth=3
	s_and_not1_saveexec_b32 s9, s9
	s_cbranch_execz .LBB0_364
; %bb.355:                              ;   in Loop: Header=BB0_130 Depth=3
	s_mov_b32 s10, 0
	s_mov_b32 s22, exec_lo
                                        ; implicit-def: $sgpr21
	v_cmpx_lt_i16_e32 0x7f, v20
	s_xor_b32 s22, exec_lo, s22
	s_cbranch_execnz .LBB0_490
; %bb.356:                              ;   in Loop: Header=BB0_130 Depth=3
	s_or_saveexec_b32 s22, s22
	v_mov_b32_e32 v161, s21
	s_xor_b32 exec_lo, exec_lo, s22
	s_cbranch_execnz .LBB0_493
.LBB0_357:                              ;   in Loop: Header=BB0_130 Depth=3
	s_or_b32 exec_lo, exec_lo, s22
	s_and_saveexec_b32 s21, s10
	s_cbranch_execz .LBB0_359
.LBB0_358:                              ;   in Loop: Header=BB0_130 Depth=3
	v_bfe_u32 v161, v21, 24, 2
	s_delay_alu instid0(VALU_DEP_1) | instskip(NEXT) | instid1(VALU_DEP_1)
	v_clz_i32_u32_e32 v162, v161
	v_min_u32_e32 v162, 32, v162
	s_delay_alu instid0(VALU_DEP_1) | instskip(SKIP_1) | instid1(VALU_DEP_2)
	v_subrev_nc_u32_e32 v163, 29, v162
	v_sub_nc_u32_e32 v162, 30, v162
	v_lshlrev_b32_e32 v20, v163, v20
	v_bfe_u32 v163, v21, 26, 5
	v_and_b32_e32 v21, 0x80000000, v21
	s_delay_alu instid0(VALU_DEP_3) | instskip(NEXT) | instid1(VALU_DEP_3)
	v_and_b32_e32 v20, 3, v20
	v_cmp_eq_u32_e32 vcc_lo, 0, v163
	v_cndmask_b32_e32 v162, v163, v162, vcc_lo
	s_delay_alu instid0(VALU_DEP_3) | instskip(NEXT) | instid1(VALU_DEP_2)
	v_cndmask_b32_e32 v20, v161, v20, vcc_lo
	v_lshl_add_u32 v161, v162, 23, 0x37800000
	s_delay_alu instid0(VALU_DEP_2) | instskip(NEXT) | instid1(VALU_DEP_1)
	v_lshlrev_b32_e32 v20, 21, v20
	v_or3_b32 v161, v21, v161, v20
.LBB0_359:                              ;   in Loop: Header=BB0_130 Depth=3
	s_or_b32 exec_lo, exec_lo, s21
	s_mov_b32 s10, 0
	s_mov_b32 s22, exec_lo
                                        ; implicit-def: $sgpr21
	v_cmpx_lt_i16_e64 0x7f, v160
	s_xor_b32 s22, exec_lo, s22
	s_cbranch_execnz .LBB0_494
; %bb.360:                              ;   in Loop: Header=BB0_130 Depth=3
	s_or_saveexec_b32 s22, s22
	v_mov_b32_e32 v20, s21
	s_xor_b32 exec_lo, exec_lo, s22
	s_cbranch_execnz .LBB0_497
.LBB0_361:                              ;   in Loop: Header=BB0_130 Depth=3
	s_or_b32 exec_lo, exec_lo, s22
	s_and_saveexec_b32 s21, s10
	s_cbranch_execz .LBB0_363
.LBB0_362:                              ;   in Loop: Header=BB0_130 Depth=3
	v_bfe_u32 v20, v97, 24, 2
	s_delay_alu instid0(VALU_DEP_1) | instskip(NEXT) | instid1(VALU_DEP_1)
	v_clz_i32_u32_e32 v21, v20
	v_min_u32_e32 v21, 32, v21
	s_delay_alu instid0(VALU_DEP_1) | instskip(SKIP_1) | instid1(VALU_DEP_2)
	v_subrev_nc_u32_e32 v162, 29, v21
	v_sub_nc_u32_e32 v21, 30, v21
	v_lshlrev_b32_e32 v160, v162, v160
	v_bfe_u32 v162, v97, 26, 5
	v_and_b32_e32 v97, 0x80000000, v97
	s_delay_alu instid0(VALU_DEP_2) | instskip(NEXT) | instid1(VALU_DEP_4)
	v_cmp_eq_u32_e32 vcc_lo, 0, v162
	v_dual_cndmask_b32 v21, v162, v21 :: v_dual_and_b32 v160, 3, v160
	s_delay_alu instid0(VALU_DEP_1) | instskip(NEXT) | instid1(VALU_DEP_2)
	v_cndmask_b32_e32 v20, v20, v160, vcc_lo
	v_lshl_add_u32 v21, v21, 23, 0x37800000
	s_delay_alu instid0(VALU_DEP_2) | instskip(NEXT) | instid1(VALU_DEP_1)
	v_lshlrev_b32_e32 v20, 21, v20
	v_or3_b32 v20, v97, v21, v20
.LBB0_363:                              ;   in Loop: Header=BB0_130 Depth=3
	s_or_b32 exec_lo, exec_lo, s21
	s_delay_alu instid0(VALU_DEP_1) | instskip(NEXT) | instid1(VALU_DEP_1)
	v_dual_max_f32 v20, v20, v20 :: v_dual_max_f32 v21, v161, v161
	v_min_f32_e32 v161, v21, v20
.LBB0_364:                              ;   in Loop: Header=BB0_130 Depth=3
	s_or_b32 exec_lo, exec_lo, s9
	s_delay_alu instid0(VALU_DEP_1) | instskip(NEXT) | instid1(VALU_DEP_1)
	v_and_b32_e32 v20, 0x7f800000, v161
	v_cmp_ne_u32_e32 vcc_lo, 0x7f800000, v20
	v_mov_b32_e32 v20, 0x8000
	s_and_saveexec_b32 s10, vcc_lo
	s_cbranch_execz .LBB0_129
; %bb.365:                              ;   in Loop: Header=BB0_130 Depth=3
	v_mov_b32_e32 v20, 0
	s_mov_b32 s21, exec_lo
	v_cmpx_ne_u32_e32 0, v161
	s_cbranch_execz .LBB0_128
; %bb.366:                              ;   in Loop: Header=BB0_130 Depth=3
	v_bfe_u32 v20, v161, 23, 8
	v_and_b32_e32 v21, 0x7fffff, v161
	s_delay_alu instid0(VALU_DEP_2) | instskip(SKIP_1) | instid1(VALU_DEP_3)
	v_sub_nc_u32_e32 v97, 0x70, v20
	v_cmp_gt_u32_e32 vcc_lo, 0x71, v20
	v_or_b32_e32 v160, 0x800000, v21
	s_delay_alu instid0(VALU_DEP_3) | instskip(SKIP_2) | instid1(VALU_DEP_3)
	v_cndmask_b32_e32 v97, 0, v97, vcc_lo
	v_cmp_eq_u32_e32 vcc_lo, 0, v20
	v_add_nc_u32_e32 v20, 0xffffff91, v20
	v_cndmask_b32_e64 v97, v97, 0x6f, vcc_lo
	v_cndmask_b32_e32 v21, v160, v21, vcc_lo
	s_delay_alu instid0(VALU_DEP_3) | instskip(NEXT) | instid1(VALU_DEP_3)
	v_cndmask_b32_e64 v20, v20, 0xffffff92, vcc_lo
	v_lshl_add_u32 v160, 0x200000, v97, -1
	s_delay_alu instid0(VALU_DEP_3) | instskip(SKIP_1) | instid1(VALU_DEP_4)
	v_lshrrev_b32_e32 v162, v97, v21
	v_lshlrev_b32_e64 v164, v97, 0x100000
	v_add_nc_u32_e32 v97, v97, v20
	s_delay_alu instid0(VALU_DEP_4) | instskip(NEXT) | instid1(VALU_DEP_4)
	v_and_b32_e32 v21, v160, v21
	v_bfe_u32 v163, v162, 21, 1
	s_delay_alu instid0(VALU_DEP_2) | instskip(NEXT) | instid1(VALU_DEP_2)
	v_cmp_eq_u32_e64 s9, v21, v164
	v_add_nc_u32_e32 v160, -1, v163
	s_delay_alu instid0(VALU_DEP_1) | instskip(SKIP_2) | instid1(VALU_DEP_2)
	v_cndmask_b32_e64 v21, 0, v160, s9
	v_lshrrev_b32_e32 v160, 23, v162
	s_mov_b32 s9, exec_lo
	v_add_nc_u32_e32 v21, v21, v162
	s_delay_alu instid0(VALU_DEP_2) | instskip(NEXT) | instid1(VALU_DEP_2)
	v_xor_b32_e32 v160, 1, v160
	v_and_b32_e32 v20, 0x1fffff, v21
	s_delay_alu instid0(VALU_DEP_1) | instskip(NEXT) | instid1(VALU_DEP_3)
	v_add_nc_u32_e32 v21, v20, v162
                                        ; implicit-def: $vgpr20
	v_cmpx_ne_u32_e64 v97, v160
	s_xor_b32 s9, exec_lo, s9
; %bb.367:                              ;   in Loop: Header=BB0_130 Depth=3
	s_delay_alu instid0(VALU_DEP_2) | instskip(SKIP_2) | instid1(VALU_DEP_2)
	v_cmp_lt_u32_e32 vcc_lo, 0xffffff, v21
	v_sub_nc_u32_e32 v20, v97, v160
	v_cndmask_b32_e64 v97, 0, 1, vcc_lo
	v_add_co_ci_u32_e32 v20, vcc_lo, 0, v20, vcc_lo
	s_delay_alu instid0(VALU_DEP_2)
	v_lshrrev_b32_e32 v21, v97, v21
; %bb.368:                              ;   in Loop: Header=BB0_130 Depth=3
	s_and_not1_saveexec_b32 s9, s9
	s_cbranch_execz .LBB0_127
; %bb.369:                              ;   in Loop: Header=BB0_130 Depth=3
	s_delay_alu instid0(VALU_DEP_1)
	v_bfe_u32 v20, v21, 23, 1
	s_branch .LBB0_127
.LBB0_370:                              ;   in Loop: Header=BB0_130 Depth=3
	s_mov_b32 s10, -1
	s_mov_b32 s23, exec_lo
                                        ; implicit-def: $sgpr21
	v_cmpx_eq_u16_e32 0x80, v22
; %bb.371:                              ;   in Loop: Header=BB0_130 Depth=3
	s_mov_b32 s21, 0x7f800001
	s_xor_b32 s10, exec_lo, -1
; %bb.372:                              ;   in Loop: Header=BB0_130 Depth=3
	s_or_b32 exec_lo, exec_lo, s23
	s_delay_alu instid0(SALU_CYCLE_1)
	s_and_b32 s10, s10, exec_lo
                                        ; implicit-def: $vgpr22
	s_or_saveexec_b32 s22, s22
	v_mov_b32_e32 v17, s21
	s_xor_b32 exec_lo, exec_lo, s22
	s_cbranch_execz .LBB0_151
.LBB0_373:                              ;   in Loop: Header=BB0_130 Depth=3
	v_cmp_ne_u16_e32 vcc_lo, 0, v22
	v_mov_b32_e32 v17, 0
	s_and_not1_b32 s10, s10, exec_lo
	s_and_b32 s21, vcc_lo, exec_lo
	s_delay_alu instid0(SALU_CYCLE_1)
	s_or_b32 s10, s10, s21
	s_or_b32 exec_lo, exec_lo, s22
	s_and_saveexec_b32 s21, s10
	s_cbranch_execnz .LBB0_152
	s_branch .LBB0_153
.LBB0_374:                              ;   in Loop: Header=BB0_130 Depth=3
	s_mov_b32 s10, -1
	s_mov_b32 s23, exec_lo
                                        ; implicit-def: $sgpr21
	v_cmpx_eq_u16_e32 0x80, v83
; %bb.375:                              ;   in Loop: Header=BB0_130 Depth=3
	s_mov_b32 s21, 0x7f800001
	s_xor_b32 s10, exec_lo, -1
; %bb.376:                              ;   in Loop: Header=BB0_130 Depth=3
	s_or_b32 exec_lo, exec_lo, s23
	s_delay_alu instid0(SALU_CYCLE_1)
	s_and_b32 s10, s10, exec_lo
                                        ; implicit-def: $vgpr83
	s_or_saveexec_b32 s22, s22
	v_mov_b32_e32 v22, s21
	s_xor_b32 exec_lo, exec_lo, s22
	s_cbranch_execz .LBB0_155
.LBB0_377:                              ;   in Loop: Header=BB0_130 Depth=3
	v_cmp_ne_u16_e32 vcc_lo, 0, v83
	v_mov_b32_e32 v22, 0
	s_and_not1_b32 s10, s10, exec_lo
	s_and_b32 s21, vcc_lo, exec_lo
	s_delay_alu instid0(SALU_CYCLE_1)
	s_or_b32 s10, s10, s21
	s_or_b32 exec_lo, exec_lo, s22
	s_and_saveexec_b32 s21, s10
	s_cbranch_execnz .LBB0_156
	s_branch .LBB0_157
.LBB0_378:                              ;   in Loop: Header=BB0_130 Depth=3
	s_mov_b32 s10, -1
	s_mov_b32 s23, exec_lo
                                        ; implicit-def: $sgpr21
	v_cmpx_eq_u16_e32 0x80, v22
; %bb.379:                              ;   in Loop: Header=BB0_130 Depth=3
	s_mov_b32 s21, 0x7f800001
	s_xor_b32 s10, exec_lo, -1
; %bb.380:                              ;   in Loop: Header=BB0_130 Depth=3
	s_or_b32 exec_lo, exec_lo, s23
	s_delay_alu instid0(SALU_CYCLE_1)
	s_and_b32 s10, s10, exec_lo
                                        ; implicit-def: $vgpr22
	s_or_saveexec_b32 s22, s22
	v_mov_b32_e32 v17, s21
	s_xor_b32 exec_lo, exec_lo, s22
	s_cbranch_execz .LBB0_161
.LBB0_381:                              ;   in Loop: Header=BB0_130 Depth=3
	v_cmp_ne_u16_e32 vcc_lo, 0, v22
	v_mov_b32_e32 v17, 0
	s_and_not1_b32 s10, s10, exec_lo
	s_and_b32 s21, vcc_lo, exec_lo
	s_delay_alu instid0(SALU_CYCLE_1)
	s_or_b32 s10, s10, s21
	s_or_b32 exec_lo, exec_lo, s22
	s_and_saveexec_b32 s21, s10
	s_cbranch_execnz .LBB0_162
	s_branch .LBB0_163
.LBB0_382:                              ;   in Loop: Header=BB0_130 Depth=3
	s_mov_b32 s10, -1
	s_mov_b32 s23, exec_lo
                                        ; implicit-def: $sgpr21
	v_cmpx_eq_u16_e32 0x80, v83
; %bb.383:                              ;   in Loop: Header=BB0_130 Depth=3
	s_mov_b32 s21, 0x7f800001
	s_xor_b32 s10, exec_lo, -1
; %bb.384:                              ;   in Loop: Header=BB0_130 Depth=3
	s_or_b32 exec_lo, exec_lo, s23
	s_delay_alu instid0(SALU_CYCLE_1)
	s_and_b32 s10, s10, exec_lo
                                        ; implicit-def: $vgpr83
	s_or_saveexec_b32 s22, s22
	v_mov_b32_e32 v22, s21
	s_xor_b32 exec_lo, exec_lo, s22
	s_cbranch_execz .LBB0_165
.LBB0_385:                              ;   in Loop: Header=BB0_130 Depth=3
	v_cmp_ne_u16_e32 vcc_lo, 0, v83
	v_mov_b32_e32 v22, 0
	s_and_not1_b32 s10, s10, exec_lo
	s_and_b32 s21, vcc_lo, exec_lo
	s_delay_alu instid0(SALU_CYCLE_1)
	s_or_b32 s10, s10, s21
	s_or_b32 exec_lo, exec_lo, s22
	s_and_saveexec_b32 s21, s10
	s_cbranch_execnz .LBB0_166
	s_branch .LBB0_167
.LBB0_386:                              ;   in Loop: Header=BB0_130 Depth=3
	s_mov_b32 s10, -1
	s_mov_b32 s23, exec_lo
                                        ; implicit-def: $sgpr21
	v_cmpx_eq_u16_e32 0x80, v83
; %bb.387:                              ;   in Loop: Header=BB0_130 Depth=3
	s_mov_b32 s21, 0x7f800001
	s_xor_b32 s10, exec_lo, -1
; %bb.388:                              ;   in Loop: Header=BB0_130 Depth=3
	s_or_b32 exec_lo, exec_lo, s23
	s_delay_alu instid0(SALU_CYCLE_1)
	s_and_b32 s10, s10, exec_lo
	s_or_saveexec_b32 s22, s22
	v_mov_b32_e32 v97, s21
	s_xor_b32 exec_lo, exec_lo, s22
	s_cbranch_execz .LBB0_179
.LBB0_389:                              ;   in Loop: Header=BB0_130 Depth=3
	v_cmp_ne_u16_e32 vcc_lo, 0, v83
	v_mov_b32_e32 v97, 0
	s_and_not1_b32 s10, s10, exec_lo
	s_and_b32 s21, vcc_lo, exec_lo
	s_delay_alu instid0(SALU_CYCLE_1)
	s_or_b32 s10, s10, s21
	s_or_b32 exec_lo, exec_lo, s22
	s_and_saveexec_b32 s21, s10
	s_cbranch_execnz .LBB0_180
	s_branch .LBB0_181
.LBB0_390:                              ;   in Loop: Header=BB0_130 Depth=3
	s_mov_b32 s10, -1
	s_mov_b32 s23, exec_lo
                                        ; implicit-def: $sgpr21
	v_cmpx_eq_u16_e32 0x80, v22
; %bb.391:                              ;   in Loop: Header=BB0_130 Depth=3
	s_mov_b32 s21, 0x7f800001
	s_xor_b32 s10, exec_lo, -1
; %bb.392:                              ;   in Loop: Header=BB0_130 Depth=3
	s_or_b32 exec_lo, exec_lo, s23
	s_delay_alu instid0(SALU_CYCLE_1)
	s_and_b32 s10, s10, exec_lo
	s_or_saveexec_b32 s22, s22
	v_mov_b32_e32 v83, s21
	s_xor_b32 exec_lo, exec_lo, s22
	s_cbranch_execz .LBB0_183
.LBB0_393:                              ;   in Loop: Header=BB0_130 Depth=3
	v_cmp_ne_u16_e32 vcc_lo, 0, v22
	v_mov_b32_e32 v83, 0
	s_and_not1_b32 s10, s10, exec_lo
	s_and_b32 s21, vcc_lo, exec_lo
	s_delay_alu instid0(SALU_CYCLE_1)
	s_or_b32 s10, s10, s21
	s_or_b32 exec_lo, exec_lo, s22
	s_and_saveexec_b32 s21, s10
	s_cbranch_execnz .LBB0_184
	s_branch .LBB0_185
.LBB0_394:                              ;   in Loop: Header=BB0_130 Depth=3
	s_mov_b32 s10, -1
	s_mov_b32 s23, exec_lo
                                        ; implicit-def: $sgpr21
	v_cmpx_eq_u16_e32 0x80, v83
; %bb.395:                              ;   in Loop: Header=BB0_130 Depth=3
	s_mov_b32 s21, 0x7f800001
	s_xor_b32 s10, exec_lo, -1
; %bb.396:                              ;   in Loop: Header=BB0_130 Depth=3
	s_or_b32 exec_lo, exec_lo, s23
	s_delay_alu instid0(SALU_CYCLE_1)
	s_and_b32 s10, s10, exec_lo
	s_or_saveexec_b32 s22, s22
	v_mov_b32_e32 v97, s21
	s_xor_b32 exec_lo, exec_lo, s22
	s_cbranch_execz .LBB0_189
.LBB0_397:                              ;   in Loop: Header=BB0_130 Depth=3
	v_cmp_ne_u16_e32 vcc_lo, 0, v83
	v_mov_b32_e32 v97, 0
	s_and_not1_b32 s10, s10, exec_lo
	s_and_b32 s21, vcc_lo, exec_lo
	s_delay_alu instid0(SALU_CYCLE_1)
	s_or_b32 s10, s10, s21
	s_or_b32 exec_lo, exec_lo, s22
	s_and_saveexec_b32 s21, s10
	s_cbranch_execnz .LBB0_190
	s_branch .LBB0_191
.LBB0_398:                              ;   in Loop: Header=BB0_130 Depth=3
	s_mov_b32 s10, -1
	s_mov_b32 s23, exec_lo
                                        ; implicit-def: $sgpr21
	v_cmpx_eq_u16_e32 0x80, v22
; %bb.399:                              ;   in Loop: Header=BB0_130 Depth=3
	s_mov_b32 s21, 0x7f800001
	s_xor_b32 s10, exec_lo, -1
; %bb.400:                              ;   in Loop: Header=BB0_130 Depth=3
	s_or_b32 exec_lo, exec_lo, s23
	s_delay_alu instid0(SALU_CYCLE_1)
	s_and_b32 s10, s10, exec_lo
	s_or_saveexec_b32 s22, s22
	v_mov_b32_e32 v83, s21
	s_xor_b32 exec_lo, exec_lo, s22
	s_cbranch_execz .LBB0_193
.LBB0_401:                              ;   in Loop: Header=BB0_130 Depth=3
	v_cmp_ne_u16_e32 vcc_lo, 0, v22
	v_mov_b32_e32 v83, 0
	s_and_not1_b32 s10, s10, exec_lo
	s_and_b32 s21, vcc_lo, exec_lo
	s_delay_alu instid0(SALU_CYCLE_1)
	s_or_b32 s10, s10, s21
	s_or_b32 exec_lo, exec_lo, s22
	s_and_saveexec_b32 s21, s10
	s_cbranch_execnz .LBB0_194
	s_branch .LBB0_195
.LBB0_402:                              ;   in Loop: Header=BB0_130 Depth=3
	s_mov_b32 s10, -1
	s_mov_b32 s23, exec_lo
                                        ; implicit-def: $sgpr21
	v_cmpx_eq_u16_e64 0x80, v161
; %bb.403:                              ;   in Loop: Header=BB0_130 Depth=3
	s_mov_b32 s21, 0x7f800001
	s_xor_b32 s10, exec_lo, -1
; %bb.404:                              ;   in Loop: Header=BB0_130 Depth=3
	s_or_b32 exec_lo, exec_lo, s23
	s_delay_alu instid0(SALU_CYCLE_1)
	s_and_b32 s10, s10, exec_lo
                                        ; implicit-def: $vgpr161
	s_or_saveexec_b32 s22, s22
	v_mov_b32_e32 v160, s21
	s_xor_b32 exec_lo, exec_lo, s22
	s_cbranch_execz .LBB0_207
.LBB0_405:                              ;   in Loop: Header=BB0_130 Depth=3
	v_cmp_ne_u16_e64 vcc_lo, 0, v161
	v_mov_b32_e32 v160, 0
	s_and_not1_b32 s10, s10, exec_lo
	s_delay_alu instid0(VALU_DEP_2) | instskip(NEXT) | instid1(SALU_CYCLE_1)
	s_and_b32 s21, vcc_lo, exec_lo
	s_or_b32 s10, s10, s21
	s_or_b32 exec_lo, exec_lo, s22
	s_and_saveexec_b32 s21, s10
	s_cbranch_execnz .LBB0_208
	s_branch .LBB0_209
.LBB0_406:                              ;   in Loop: Header=BB0_130 Depth=3
	s_mov_b32 s10, -1
	s_mov_b32 s23, exec_lo
                                        ; implicit-def: $sgpr21
	v_cmpx_eq_u16_e64 0x80, v161
; %bb.407:                              ;   in Loop: Header=BB0_130 Depth=3
	s_mov_b32 s21, 0x7f800001
	s_xor_b32 s10, exec_lo, -1
; %bb.408:                              ;   in Loop: Header=BB0_130 Depth=3
	s_or_b32 exec_lo, exec_lo, s23
	s_delay_alu instid0(SALU_CYCLE_1)
	s_and_b32 s10, s10, exec_lo
                                        ; implicit-def: $vgpr161
	s_or_saveexec_b32 s22, s22
	v_mov_b32_e32 v97, s21
	s_xor_b32 exec_lo, exec_lo, s22
	s_cbranch_execz .LBB0_211
.LBB0_409:                              ;   in Loop: Header=BB0_130 Depth=3
	v_cmp_ne_u16_e64 vcc_lo, 0, v161
	v_mov_b32_e32 v97, 0
	s_and_not1_b32 s10, s10, exec_lo
	s_delay_alu instid0(VALU_DEP_2) | instskip(NEXT) | instid1(SALU_CYCLE_1)
	s_and_b32 s21, vcc_lo, exec_lo
	s_or_b32 s10, s10, s21
	s_or_b32 exec_lo, exec_lo, s22
	s_and_saveexec_b32 s21, s10
	s_cbranch_execnz .LBB0_212
	s_branch .LBB0_213
.LBB0_410:                              ;   in Loop: Header=BB0_130 Depth=3
	s_mov_b32 s10, -1
	s_mov_b32 s23, exec_lo
                                        ; implicit-def: $sgpr21
	v_cmpx_eq_u16_e64 0x80, v161
; %bb.411:                              ;   in Loop: Header=BB0_130 Depth=3
	s_mov_b32 s21, 0x7f800001
	s_xor_b32 s10, exec_lo, -1
; %bb.412:                              ;   in Loop: Header=BB0_130 Depth=3
	s_or_b32 exec_lo, exec_lo, s23
	s_delay_alu instid0(SALU_CYCLE_1)
	s_and_b32 s10, s10, exec_lo
                                        ; implicit-def: $vgpr161
	s_or_saveexec_b32 s22, s22
	v_mov_b32_e32 v160, s21
	s_xor_b32 exec_lo, exec_lo, s22
	s_cbranch_execz .LBB0_217
.LBB0_413:                              ;   in Loop: Header=BB0_130 Depth=3
	v_cmp_ne_u16_e64 vcc_lo, 0, v161
	v_mov_b32_e32 v160, 0
	s_and_not1_b32 s10, s10, exec_lo
	s_delay_alu instid0(VALU_DEP_2) | instskip(NEXT) | instid1(SALU_CYCLE_1)
	s_and_b32 s21, vcc_lo, exec_lo
	s_or_b32 s10, s10, s21
	s_or_b32 exec_lo, exec_lo, s22
	s_and_saveexec_b32 s21, s10
	s_cbranch_execnz .LBB0_218
	s_branch .LBB0_219
.LBB0_414:                              ;   in Loop: Header=BB0_130 Depth=3
	s_mov_b32 s10, -1
	s_mov_b32 s23, exec_lo
                                        ; implicit-def: $sgpr21
	v_cmpx_eq_u16_e64 0x80, v161
; %bb.415:                              ;   in Loop: Header=BB0_130 Depth=3
	s_mov_b32 s21, 0x7f800001
	s_xor_b32 s10, exec_lo, -1
; %bb.416:                              ;   in Loop: Header=BB0_130 Depth=3
	s_or_b32 exec_lo, exec_lo, s23
	s_delay_alu instid0(SALU_CYCLE_1)
	s_and_b32 s10, s10, exec_lo
                                        ; implicit-def: $vgpr161
	s_or_saveexec_b32 s22, s22
	v_mov_b32_e32 v97, s21
	s_xor_b32 exec_lo, exec_lo, s22
	s_cbranch_execz .LBB0_221
.LBB0_417:                              ;   in Loop: Header=BB0_130 Depth=3
	v_cmp_ne_u16_e64 vcc_lo, 0, v161
	v_mov_b32_e32 v97, 0
	s_and_not1_b32 s10, s10, exec_lo
	s_delay_alu instid0(VALU_DEP_2) | instskip(NEXT) | instid1(SALU_CYCLE_1)
	s_and_b32 s21, vcc_lo, exec_lo
	s_or_b32 s10, s10, s21
	s_or_b32 exec_lo, exec_lo, s22
	s_and_saveexec_b32 s21, s10
	s_cbranch_execnz .LBB0_222
	s_branch .LBB0_223
.LBB0_418:                              ;   in Loop: Header=BB0_130 Depth=3
	s_mov_b32 s10, -1
	s_mov_b32 s23, exec_lo
                                        ; implicit-def: $sgpr21
	v_cmpx_eq_u16_e64 0x80, v160
; %bb.419:                              ;   in Loop: Header=BB0_130 Depth=3
	s_mov_b32 s21, 0x7f800001
	s_xor_b32 s10, exec_lo, -1
; %bb.420:                              ;   in Loop: Header=BB0_130 Depth=3
	s_or_b32 exec_lo, exec_lo, s23
	s_delay_alu instid0(SALU_CYCLE_1)
	s_and_b32 s10, s10, exec_lo
	s_or_saveexec_b32 s22, s22
	v_mov_b32_e32 v161, s21
	s_xor_b32 exec_lo, exec_lo, s22
	s_cbranch_execz .LBB0_235
.LBB0_421:                              ;   in Loop: Header=BB0_130 Depth=3
	v_cmp_ne_u16_e64 vcc_lo, 0, v160
	v_mov_b32_e32 v161, 0
	s_and_not1_b32 s10, s10, exec_lo
	s_delay_alu instid0(VALU_DEP_2) | instskip(NEXT) | instid1(SALU_CYCLE_1)
	s_and_b32 s21, vcc_lo, exec_lo
	s_or_b32 s10, s10, s21
	s_or_b32 exec_lo, exec_lo, s22
	s_and_saveexec_b32 s21, s10
	s_cbranch_execnz .LBB0_236
	s_branch .LBB0_237
.LBB0_422:                              ;   in Loop: Header=BB0_130 Depth=3
	s_mov_b32 s10, -1
	s_mov_b32 s23, exec_lo
                                        ; implicit-def: $sgpr21
	v_cmpx_eq_u16_e32 0x80, v97
; %bb.423:                              ;   in Loop: Header=BB0_130 Depth=3
	s_mov_b32 s21, 0x7f800001
	s_xor_b32 s10, exec_lo, -1
; %bb.424:                              ;   in Loop: Header=BB0_130 Depth=3
	s_or_b32 exec_lo, exec_lo, s23
	s_delay_alu instid0(SALU_CYCLE_1)
	s_and_b32 s10, s10, exec_lo
	s_or_saveexec_b32 s22, s22
	v_mov_b32_e32 v19, s21
	s_xor_b32 exec_lo, exec_lo, s22
	s_cbranch_execz .LBB0_239
.LBB0_425:                              ;   in Loop: Header=BB0_130 Depth=3
	v_cmp_ne_u16_e32 vcc_lo, 0, v97
	v_mov_b32_e32 v19, 0
	s_and_not1_b32 s10, s10, exec_lo
	s_and_b32 s21, vcc_lo, exec_lo
	s_delay_alu instid0(SALU_CYCLE_1)
	s_or_b32 s10, s10, s21
	s_or_b32 exec_lo, exec_lo, s22
	s_and_saveexec_b32 s21, s10
	s_cbranch_execnz .LBB0_240
	s_branch .LBB0_241
.LBB0_426:                              ;   in Loop: Header=BB0_130 Depth=3
	s_mov_b32 s10, -1
	s_mov_b32 s23, exec_lo
                                        ; implicit-def: $sgpr21
	v_cmpx_eq_u16_e64 0x80, v160
; %bb.427:                              ;   in Loop: Header=BB0_130 Depth=3
	s_mov_b32 s21, 0x7f800001
	s_xor_b32 s10, exec_lo, -1
; %bb.428:                              ;   in Loop: Header=BB0_130 Depth=3
	s_or_b32 exec_lo, exec_lo, s23
	s_delay_alu instid0(SALU_CYCLE_1)
	s_and_b32 s10, s10, exec_lo
	s_or_saveexec_b32 s22, s22
	v_mov_b32_e32 v161, s21
	s_xor_b32 exec_lo, exec_lo, s22
	s_cbranch_execz .LBB0_245
.LBB0_429:                              ;   in Loop: Header=BB0_130 Depth=3
	v_cmp_ne_u16_e64 vcc_lo, 0, v160
	v_mov_b32_e32 v161, 0
	s_and_not1_b32 s10, s10, exec_lo
	s_delay_alu instid0(VALU_DEP_2) | instskip(NEXT) | instid1(SALU_CYCLE_1)
	s_and_b32 s21, vcc_lo, exec_lo
	s_or_b32 s10, s10, s21
	s_or_b32 exec_lo, exec_lo, s22
	s_and_saveexec_b32 s21, s10
	s_cbranch_execnz .LBB0_246
	s_branch .LBB0_247
.LBB0_430:                              ;   in Loop: Header=BB0_130 Depth=3
	s_mov_b32 s10, -1
	s_mov_b32 s23, exec_lo
                                        ; implicit-def: $sgpr21
	v_cmpx_eq_u16_e32 0x80, v97
; %bb.431:                              ;   in Loop: Header=BB0_130 Depth=3
	s_mov_b32 s21, 0x7f800001
	s_xor_b32 s10, exec_lo, -1
; %bb.432:                              ;   in Loop: Header=BB0_130 Depth=3
	s_or_b32 exec_lo, exec_lo, s23
	s_delay_alu instid0(SALU_CYCLE_1)
	s_and_b32 s10, s10, exec_lo
	s_or_saveexec_b32 s22, s22
	v_mov_b32_e32 v19, s21
	s_xor_b32 exec_lo, exec_lo, s22
	s_cbranch_execz .LBB0_249
.LBB0_433:                              ;   in Loop: Header=BB0_130 Depth=3
	v_cmp_ne_u16_e32 vcc_lo, 0, v97
	v_mov_b32_e32 v19, 0
	s_and_not1_b32 s10, s10, exec_lo
	s_and_b32 s21, vcc_lo, exec_lo
	s_delay_alu instid0(SALU_CYCLE_1)
	s_or_b32 s10, s10, s21
	s_or_b32 exec_lo, exec_lo, s22
	s_and_saveexec_b32 s21, s10
	s_cbranch_execnz .LBB0_250
	s_branch .LBB0_251
.LBB0_434:                              ;   in Loop: Header=BB0_130 Depth=3
	s_mov_b32 s10, -1
	s_mov_b32 s23, exec_lo
                                        ; implicit-def: $sgpr21
	v_cmpx_eq_u16_e32 0x80, v20
; %bb.435:                              ;   in Loop: Header=BB0_130 Depth=3
	s_mov_b32 s21, 0x7f800001
	s_xor_b32 s10, exec_lo, -1
; %bb.436:                              ;   in Loop: Header=BB0_130 Depth=3
	s_or_b32 exec_lo, exec_lo, s23
	s_delay_alu instid0(SALU_CYCLE_1)
	s_and_b32 s10, s10, exec_lo
                                        ; implicit-def: $vgpr20
	s_or_saveexec_b32 s22, s22
	v_mov_b32_e32 v19, s21
	s_xor_b32 exec_lo, exec_lo, s22
	s_cbranch_execz .LBB0_263
.LBB0_437:                              ;   in Loop: Header=BB0_130 Depth=3
	v_cmp_ne_u16_e32 vcc_lo, 0, v20
	v_mov_b32_e32 v19, 0
	s_and_not1_b32 s10, s10, exec_lo
	s_and_b32 s21, vcc_lo, exec_lo
	s_delay_alu instid0(SALU_CYCLE_1)
	s_or_b32 s10, s10, s21
	s_or_b32 exec_lo, exec_lo, s22
	s_and_saveexec_b32 s21, s10
	s_cbranch_execnz .LBB0_264
	s_branch .LBB0_265
.LBB0_438:                              ;   in Loop: Header=BB0_130 Depth=3
	s_mov_b32 s10, -1
	s_mov_b32 s23, exec_lo
                                        ; implicit-def: $sgpr21
	v_cmpx_eq_u16_e64 0x80, v150
; %bb.439:                              ;   in Loop: Header=BB0_130 Depth=3
	s_mov_b32 s21, 0x7f800001
	s_xor_b32 s10, exec_lo, -1
; %bb.440:                              ;   in Loop: Header=BB0_130 Depth=3
	s_or_b32 exec_lo, exec_lo, s23
	s_delay_alu instid0(SALU_CYCLE_1)
	s_and_b32 s10, s10, exec_lo
                                        ; implicit-def: $vgpr150
	s_or_saveexec_b32 s22, s22
	v_mov_b32_e32 v20, s21
	s_xor_b32 exec_lo, exec_lo, s22
	s_cbranch_execz .LBB0_267
.LBB0_441:                              ;   in Loop: Header=BB0_130 Depth=3
	v_cmp_ne_u16_e64 vcc_lo, 0, v150
	v_mov_b32_e32 v20, 0
	s_and_not1_b32 s10, s10, exec_lo
	s_delay_alu instid0(VALU_DEP_2) | instskip(NEXT) | instid1(SALU_CYCLE_1)
	s_and_b32 s21, vcc_lo, exec_lo
	s_or_b32 s10, s10, s21
	s_or_b32 exec_lo, exec_lo, s22
	s_and_saveexec_b32 s21, s10
	s_cbranch_execnz .LBB0_268
	s_branch .LBB0_269
.LBB0_442:                              ;   in Loop: Header=BB0_130 Depth=3
	s_mov_b32 s10, -1
	s_mov_b32 s23, exec_lo
                                        ; implicit-def: $sgpr21
	v_cmpx_eq_u16_e32 0x80, v20
; %bb.443:                              ;   in Loop: Header=BB0_130 Depth=3
	s_mov_b32 s21, 0x7f800001
	s_xor_b32 s10, exec_lo, -1
; %bb.444:                              ;   in Loop: Header=BB0_130 Depth=3
	s_or_b32 exec_lo, exec_lo, s23
	s_delay_alu instid0(SALU_CYCLE_1)
	s_and_b32 s10, s10, exec_lo
                                        ; implicit-def: $vgpr20
	s_or_saveexec_b32 s22, s22
	v_mov_b32_e32 v19, s21
	s_xor_b32 exec_lo, exec_lo, s22
	s_cbranch_execz .LBB0_273
.LBB0_445:                              ;   in Loop: Header=BB0_130 Depth=3
	v_cmp_ne_u16_e32 vcc_lo, 0, v20
	v_mov_b32_e32 v19, 0
	s_and_not1_b32 s10, s10, exec_lo
	s_and_b32 s21, vcc_lo, exec_lo
	s_delay_alu instid0(SALU_CYCLE_1)
	s_or_b32 s10, s10, s21
	s_or_b32 exec_lo, exec_lo, s22
	s_and_saveexec_b32 s21, s10
	s_cbranch_execnz .LBB0_274
	s_branch .LBB0_275
.LBB0_446:                              ;   in Loop: Header=BB0_130 Depth=3
	s_mov_b32 s10, -1
	s_mov_b32 s23, exec_lo
                                        ; implicit-def: $sgpr21
	v_cmpx_eq_u16_e64 0x80, v150
; %bb.447:                              ;   in Loop: Header=BB0_130 Depth=3
	s_mov_b32 s21, 0x7f800001
	s_xor_b32 s10, exec_lo, -1
; %bb.448:                              ;   in Loop: Header=BB0_130 Depth=3
	s_or_b32 exec_lo, exec_lo, s23
	s_delay_alu instid0(SALU_CYCLE_1)
	s_and_b32 s10, s10, exec_lo
                                        ; implicit-def: $vgpr150
	s_or_saveexec_b32 s22, s22
	v_mov_b32_e32 v20, s21
	s_xor_b32 exec_lo, exec_lo, s22
	s_cbranch_execz .LBB0_277
.LBB0_449:                              ;   in Loop: Header=BB0_130 Depth=3
	v_cmp_ne_u16_e64 vcc_lo, 0, v150
	v_mov_b32_e32 v20, 0
	s_and_not1_b32 s10, s10, exec_lo
	s_delay_alu instid0(VALU_DEP_2) | instskip(NEXT) | instid1(SALU_CYCLE_1)
	s_and_b32 s21, vcc_lo, exec_lo
	s_or_b32 s10, s10, s21
	s_or_b32 exec_lo, exec_lo, s22
	s_and_saveexec_b32 s21, s10
	s_cbranch_execnz .LBB0_278
	s_branch .LBB0_279
.LBB0_450:                              ;   in Loop: Header=BB0_130 Depth=3
	s_mov_b32 s10, -1
	s_mov_b32 s23, exec_lo
                                        ; implicit-def: $sgpr21
	v_cmpx_eq_u16_e64 0x80, v160
; %bb.451:                              ;   in Loop: Header=BB0_130 Depth=3
	s_mov_b32 s21, 0x7f800001
	s_xor_b32 s10, exec_lo, -1
; %bb.452:                              ;   in Loop: Header=BB0_130 Depth=3
	s_or_b32 exec_lo, exec_lo, s23
	s_delay_alu instid0(SALU_CYCLE_1)
	s_and_b32 s10, s10, exec_lo
	s_or_saveexec_b32 s22, s22
	v_mov_b32_e32 v20, s21
	s_xor_b32 exec_lo, exec_lo, s22
	s_cbranch_execz .LBB0_291
.LBB0_453:                              ;   in Loop: Header=BB0_130 Depth=3
	v_cmp_ne_u16_e64 vcc_lo, 0, v160
	v_mov_b32_e32 v20, 0
	s_and_not1_b32 s10, s10, exec_lo
	s_delay_alu instid0(VALU_DEP_2) | instskip(NEXT) | instid1(SALU_CYCLE_1)
	s_and_b32 s21, vcc_lo, exec_lo
	s_or_b32 s10, s10, s21
	s_or_b32 exec_lo, exec_lo, s22
	s_and_saveexec_b32 s21, s10
	s_cbranch_execnz .LBB0_292
	s_branch .LBB0_293
.LBB0_454:                              ;   in Loop: Header=BB0_130 Depth=3
	s_mov_b32 s10, -1
	s_mov_b32 s23, exec_lo
                                        ; implicit-def: $sgpr21
	v_cmpx_eq_u16_e64 0x80, v151
; %bb.455:                              ;   in Loop: Header=BB0_130 Depth=3
	s_mov_b32 s21, 0x7f800001
	s_xor_b32 s10, exec_lo, -1
; %bb.456:                              ;   in Loop: Header=BB0_130 Depth=3
	s_or_b32 exec_lo, exec_lo, s23
	s_delay_alu instid0(SALU_CYCLE_1)
	s_and_b32 s10, s10, exec_lo
	s_or_saveexec_b32 s22, s22
	v_mov_b32_e32 v19, s21
	s_xor_b32 exec_lo, exec_lo, s22
	s_cbranch_execz .LBB0_295
.LBB0_457:                              ;   in Loop: Header=BB0_130 Depth=3
	v_cmp_ne_u16_e64 vcc_lo, 0, v151
	v_mov_b32_e32 v19, 0
	s_and_not1_b32 s10, s10, exec_lo
	s_delay_alu instid0(VALU_DEP_2) | instskip(NEXT) | instid1(SALU_CYCLE_1)
	s_and_b32 s21, vcc_lo, exec_lo
	s_or_b32 s10, s10, s21
	s_or_b32 exec_lo, exec_lo, s22
	s_and_saveexec_b32 s21, s10
	s_cbranch_execnz .LBB0_296
	s_branch .LBB0_297
.LBB0_458:                              ;   in Loop: Header=BB0_130 Depth=3
	s_mov_b32 s10, -1
	s_mov_b32 s23, exec_lo
                                        ; implicit-def: $sgpr21
	v_cmpx_eq_u16_e64 0x80, v160
; %bb.459:                              ;   in Loop: Header=BB0_130 Depth=3
	s_mov_b32 s21, 0x7f800001
	s_xor_b32 s10, exec_lo, -1
; %bb.460:                              ;   in Loop: Header=BB0_130 Depth=3
	s_or_b32 exec_lo, exec_lo, s23
	s_delay_alu instid0(SALU_CYCLE_1)
	s_and_b32 s10, s10, exec_lo
	s_or_saveexec_b32 s22, s22
	v_mov_b32_e32 v20, s21
	s_xor_b32 exec_lo, exec_lo, s22
	s_cbranch_execz .LBB0_301
.LBB0_461:                              ;   in Loop: Header=BB0_130 Depth=3
	v_cmp_ne_u16_e64 vcc_lo, 0, v160
	v_mov_b32_e32 v20, 0
	s_and_not1_b32 s10, s10, exec_lo
	s_delay_alu instid0(VALU_DEP_2) | instskip(NEXT) | instid1(SALU_CYCLE_1)
	s_and_b32 s21, vcc_lo, exec_lo
	s_or_b32 s10, s10, s21
	s_or_b32 exec_lo, exec_lo, s22
	s_and_saveexec_b32 s21, s10
	s_cbranch_execnz .LBB0_302
	s_branch .LBB0_303
.LBB0_462:                              ;   in Loop: Header=BB0_130 Depth=3
	s_mov_b32 s10, -1
	s_mov_b32 s23, exec_lo
                                        ; implicit-def: $sgpr21
	v_cmpx_eq_u16_e64 0x80, v151
; %bb.463:                              ;   in Loop: Header=BB0_130 Depth=3
	s_mov_b32 s21, 0x7f800001
	s_xor_b32 s10, exec_lo, -1
; %bb.464:                              ;   in Loop: Header=BB0_130 Depth=3
	s_or_b32 exec_lo, exec_lo, s23
	s_delay_alu instid0(SALU_CYCLE_1)
	s_and_b32 s10, s10, exec_lo
	s_or_saveexec_b32 s22, s22
	v_mov_b32_e32 v19, s21
	s_xor_b32 exec_lo, exec_lo, s22
	s_cbranch_execz .LBB0_305
.LBB0_465:                              ;   in Loop: Header=BB0_130 Depth=3
	v_cmp_ne_u16_e64 vcc_lo, 0, v151
	v_mov_b32_e32 v19, 0
	s_and_not1_b32 s10, s10, exec_lo
	s_delay_alu instid0(VALU_DEP_2) | instskip(NEXT) | instid1(SALU_CYCLE_1)
	s_and_b32 s21, vcc_lo, exec_lo
	s_or_b32 s10, s10, s21
	s_or_b32 exec_lo, exec_lo, s22
	s_and_saveexec_b32 s21, s10
	s_cbranch_execnz .LBB0_306
	s_branch .LBB0_307
.LBB0_466:                              ;   in Loop: Header=BB0_130 Depth=3
	s_mov_b32 s10, -1
	s_mov_b32 s23, exec_lo
                                        ; implicit-def: $sgpr21
	v_cmpx_eq_u16_e64 0x80, v161
; %bb.467:                              ;   in Loop: Header=BB0_130 Depth=3
	s_mov_b32 s21, 0x7f800001
	s_xor_b32 s10, exec_lo, -1
; %bb.468:                              ;   in Loop: Header=BB0_130 Depth=3
	s_or_b32 exec_lo, exec_lo, s23
	s_delay_alu instid0(SALU_CYCLE_1)
	s_and_b32 s10, s10, exec_lo
                                        ; implicit-def: $vgpr161
	s_or_saveexec_b32 s22, s22
	v_mov_b32_e32 v160, s21
	s_xor_b32 exec_lo, exec_lo, s22
	s_cbranch_execz .LBB0_319
.LBB0_469:                              ;   in Loop: Header=BB0_130 Depth=3
	v_cmp_ne_u16_e64 vcc_lo, 0, v161
	v_mov_b32_e32 v160, 0
	s_and_not1_b32 s10, s10, exec_lo
	s_delay_alu instid0(VALU_DEP_2) | instskip(NEXT) | instid1(SALU_CYCLE_1)
	s_and_b32 s21, vcc_lo, exec_lo
	s_or_b32 s10, s10, s21
	s_or_b32 exec_lo, exec_lo, s22
	s_and_saveexec_b32 s21, s10
	s_cbranch_execnz .LBB0_320
	s_branch .LBB0_321
.LBB0_470:                              ;   in Loop: Header=BB0_130 Depth=3
	s_mov_b32 s10, -1
	s_mov_b32 s23, exec_lo
                                        ; implicit-def: $sgpr21
	v_cmpx_eq_u16_e64 0x80, v161
; %bb.471:                              ;   in Loop: Header=BB0_130 Depth=3
	s_mov_b32 s21, 0x7f800001
	s_xor_b32 s10, exec_lo, -1
; %bb.472:                              ;   in Loop: Header=BB0_130 Depth=3
	s_or_b32 exec_lo, exec_lo, s23
	s_delay_alu instid0(SALU_CYCLE_1)
	s_and_b32 s10, s10, exec_lo
                                        ; implicit-def: $vgpr161
	s_or_saveexec_b32 s22, s22
	v_mov_b32_e32 v151, s21
	s_xor_b32 exec_lo, exec_lo, s22
	s_cbranch_execz .LBB0_323
.LBB0_473:                              ;   in Loop: Header=BB0_130 Depth=3
	v_cmp_ne_u16_e64 vcc_lo, 0, v161
	v_mov_b32_e32 v151, 0
	s_and_not1_b32 s10, s10, exec_lo
	s_delay_alu instid0(VALU_DEP_2) | instskip(NEXT) | instid1(SALU_CYCLE_1)
	s_and_b32 s21, vcc_lo, exec_lo
	s_or_b32 s10, s10, s21
	s_or_b32 exec_lo, exec_lo, s22
	s_and_saveexec_b32 s21, s10
	s_cbranch_execnz .LBB0_324
	s_branch .LBB0_325
.LBB0_474:                              ;   in Loop: Header=BB0_130 Depth=3
	s_mov_b32 s10, -1
	s_mov_b32 s23, exec_lo
                                        ; implicit-def: $sgpr21
	v_cmpx_eq_u16_e64 0x80, v161
; %bb.475:                              ;   in Loop: Header=BB0_130 Depth=3
	s_mov_b32 s21, 0x7f800001
	s_xor_b32 s10, exec_lo, -1
; %bb.476:                              ;   in Loop: Header=BB0_130 Depth=3
	s_or_b32 exec_lo, exec_lo, s23
	s_delay_alu instid0(SALU_CYCLE_1)
	s_and_b32 s10, s10, exec_lo
                                        ; implicit-def: $vgpr161
	s_or_saveexec_b32 s22, s22
	v_mov_b32_e32 v160, s21
	s_xor_b32 exec_lo, exec_lo, s22
	s_cbranch_execz .LBB0_329
.LBB0_477:                              ;   in Loop: Header=BB0_130 Depth=3
	v_cmp_ne_u16_e64 vcc_lo, 0, v161
	v_mov_b32_e32 v160, 0
	s_and_not1_b32 s10, s10, exec_lo
	s_delay_alu instid0(VALU_DEP_2) | instskip(NEXT) | instid1(SALU_CYCLE_1)
	s_and_b32 s21, vcc_lo, exec_lo
	s_or_b32 s10, s10, s21
	s_or_b32 exec_lo, exec_lo, s22
	s_and_saveexec_b32 s21, s10
	s_cbranch_execnz .LBB0_330
	s_branch .LBB0_331
.LBB0_478:                              ;   in Loop: Header=BB0_130 Depth=3
	s_mov_b32 s10, -1
	s_mov_b32 s23, exec_lo
                                        ; implicit-def: $sgpr21
	v_cmpx_eq_u16_e64 0x80, v161
; %bb.479:                              ;   in Loop: Header=BB0_130 Depth=3
	s_mov_b32 s21, 0x7f800001
	s_xor_b32 s10, exec_lo, -1
; %bb.480:                              ;   in Loop: Header=BB0_130 Depth=3
	s_or_b32 exec_lo, exec_lo, s23
	s_delay_alu instid0(SALU_CYCLE_1)
	s_and_b32 s10, s10, exec_lo
                                        ; implicit-def: $vgpr161
	s_or_saveexec_b32 s22, s22
	v_mov_b32_e32 v151, s21
	s_xor_b32 exec_lo, exec_lo, s22
	s_cbranch_execz .LBB0_333
.LBB0_481:                              ;   in Loop: Header=BB0_130 Depth=3
	v_cmp_ne_u16_e64 vcc_lo, 0, v161
	v_mov_b32_e32 v151, 0
	s_and_not1_b32 s10, s10, exec_lo
	s_delay_alu instid0(VALU_DEP_2) | instskip(NEXT) | instid1(SALU_CYCLE_1)
	s_and_b32 s21, vcc_lo, exec_lo
	s_or_b32 s10, s10, s21
	s_or_b32 exec_lo, exec_lo, s22
	s_and_saveexec_b32 s21, s10
	s_cbranch_execnz .LBB0_334
	s_branch .LBB0_335
.LBB0_482:                              ;   in Loop: Header=BB0_130 Depth=3
	s_mov_b32 s10, -1
	s_mov_b32 s23, exec_lo
                                        ; implicit-def: $sgpr21
	v_cmpx_eq_u16_e32 0x80, v20
; %bb.483:                              ;   in Loop: Header=BB0_130 Depth=3
	s_mov_b32 s21, 0x7f800001
	s_xor_b32 s10, exec_lo, -1
; %bb.484:                              ;   in Loop: Header=BB0_130 Depth=3
	s_or_b32 exec_lo, exec_lo, s23
	s_delay_alu instid0(SALU_CYCLE_1)
	s_and_b32 s10, s10, exec_lo
	s_or_saveexec_b32 s22, s22
	v_mov_b32_e32 v161, s21
	s_xor_b32 exec_lo, exec_lo, s22
	s_cbranch_execz .LBB0_347
.LBB0_485:                              ;   in Loop: Header=BB0_130 Depth=3
	v_cmp_ne_u16_e32 vcc_lo, 0, v20
	v_mov_b32_e32 v161, 0
	s_and_not1_b32 s10, s10, exec_lo
	s_and_b32 s21, vcc_lo, exec_lo
	s_delay_alu instid0(SALU_CYCLE_1)
	s_or_b32 s10, s10, s21
	s_or_b32 exec_lo, exec_lo, s22
	s_and_saveexec_b32 s21, s10
	s_cbranch_execnz .LBB0_348
	s_branch .LBB0_349
.LBB0_486:                              ;   in Loop: Header=BB0_130 Depth=3
	s_mov_b32 s10, -1
	s_mov_b32 s23, exec_lo
                                        ; implicit-def: $sgpr21
	v_cmpx_eq_u16_e64 0x80, v160
; %bb.487:                              ;   in Loop: Header=BB0_130 Depth=3
	s_mov_b32 s21, 0x7f800001
	s_xor_b32 s10, exec_lo, -1
; %bb.488:                              ;   in Loop: Header=BB0_130 Depth=3
	s_or_b32 exec_lo, exec_lo, s23
	s_delay_alu instid0(SALU_CYCLE_1)
	s_and_b32 s10, s10, exec_lo
	s_or_saveexec_b32 s22, s22
	v_mov_b32_e32 v20, s21
	s_xor_b32 exec_lo, exec_lo, s22
	s_cbranch_execz .LBB0_351
.LBB0_489:                              ;   in Loop: Header=BB0_130 Depth=3
	v_cmp_ne_u16_e64 vcc_lo, 0, v160
	v_mov_b32_e32 v20, 0
	s_and_not1_b32 s10, s10, exec_lo
	s_delay_alu instid0(VALU_DEP_2) | instskip(NEXT) | instid1(SALU_CYCLE_1)
	s_and_b32 s21, vcc_lo, exec_lo
	s_or_b32 s10, s10, s21
	s_or_b32 exec_lo, exec_lo, s22
	s_and_saveexec_b32 s21, s10
	s_cbranch_execnz .LBB0_352
	s_branch .LBB0_353
.LBB0_490:                              ;   in Loop: Header=BB0_130 Depth=3
	s_mov_b32 s10, -1
	s_mov_b32 s23, exec_lo
                                        ; implicit-def: $sgpr21
	v_cmpx_eq_u16_e32 0x80, v20
; %bb.491:                              ;   in Loop: Header=BB0_130 Depth=3
	s_mov_b32 s21, 0x7f800001
	s_xor_b32 s10, exec_lo, -1
; %bb.492:                              ;   in Loop: Header=BB0_130 Depth=3
	s_or_b32 exec_lo, exec_lo, s23
	s_delay_alu instid0(SALU_CYCLE_1)
	s_and_b32 s10, s10, exec_lo
	s_or_saveexec_b32 s22, s22
	v_mov_b32_e32 v161, s21
	s_xor_b32 exec_lo, exec_lo, s22
	s_cbranch_execz .LBB0_357
.LBB0_493:                              ;   in Loop: Header=BB0_130 Depth=3
	v_cmp_ne_u16_e32 vcc_lo, 0, v20
	v_mov_b32_e32 v161, 0
	s_and_not1_b32 s10, s10, exec_lo
	s_and_b32 s21, vcc_lo, exec_lo
	s_delay_alu instid0(SALU_CYCLE_1)
	s_or_b32 s10, s10, s21
	s_or_b32 exec_lo, exec_lo, s22
	s_and_saveexec_b32 s21, s10
	s_cbranch_execnz .LBB0_358
	s_branch .LBB0_359
.LBB0_494:                              ;   in Loop: Header=BB0_130 Depth=3
	s_mov_b32 s10, -1
	s_mov_b32 s23, exec_lo
                                        ; implicit-def: $sgpr21
	v_cmpx_eq_u16_e64 0x80, v160
; %bb.495:                              ;   in Loop: Header=BB0_130 Depth=3
	s_mov_b32 s21, 0x7f800001
	s_xor_b32 s10, exec_lo, -1
; %bb.496:                              ;   in Loop: Header=BB0_130 Depth=3
	s_or_b32 exec_lo, exec_lo, s23
	s_delay_alu instid0(SALU_CYCLE_1)
	s_and_b32 s10, s10, exec_lo
	s_or_saveexec_b32 s22, s22
	v_mov_b32_e32 v20, s21
	s_xor_b32 exec_lo, exec_lo, s22
	s_cbranch_execz .LBB0_361
.LBB0_497:                              ;   in Loop: Header=BB0_130 Depth=3
	v_cmp_ne_u16_e64 vcc_lo, 0, v160
	v_mov_b32_e32 v20, 0
	s_and_not1_b32 s10, s10, exec_lo
	s_delay_alu instid0(VALU_DEP_2) | instskip(NEXT) | instid1(SALU_CYCLE_1)
	s_and_b32 s21, vcc_lo, exec_lo
	s_or_b32 s10, s10, s21
	s_or_b32 exec_lo, exec_lo, s22
	s_and_saveexec_b32 s21, s10
	s_cbranch_execnz .LBB0_362
	s_branch .LBB0_363
.LBB0_498:                              ;   in Loop: Header=BB0_85 Depth=2
	s_or_b32 exec_lo, exec_lo, s20
.LBB0_499:                              ;   in Loop: Header=BB0_85 Depth=2
	s_delay_alu instid0(SALU_CYCLE_1)
	s_or_b32 exec_lo, exec_lo, s19
	s_and_saveexec_b32 s9, s3
	s_cbranch_execz .LBB0_521
; %bb.500:                              ;   in Loop: Header=BB0_85 Depth=2
	s_and_saveexec_b32 s10, s4
	s_delay_alu instid0(SALU_CYCLE_1)
	s_xor_b32 s10, exec_lo, s10
	s_cbranch_execz .LBB0_518
; %bb.501:                              ;   in Loop: Header=BB0_85 Depth=2
	s_and_saveexec_b32 s19, s5
	s_cbranch_execz .LBB0_517
; %bb.502:                              ;   in Loop: Header=BB0_85 Depth=2
	s_mov_b32 s21, exec_lo
	s_mov_b32 s20, exec_lo
	v_mbcnt_lo_u32_b32 v17, s21, 0
	s_waitcnt vmcnt(0) lgkmcnt(0)
	s_waitcnt_vscnt null, 0x0
	buffer_gl1_inv
	buffer_gl0_inv
	v_cmpx_eq_u32_e32 0, v17
	s_cbranch_execz .LBB0_504
; %bb.503:                              ;   in Loop: Header=BB0_85 Depth=2
	s_bcnt1_i32_b32 s21, s21
	s_delay_alu instid0(SALU_CYCLE_1)
	v_mov_b32_e32 v54, s21
	ds_add_u64 v0, v[54:55]
	s_cbranch_execnz .LBB0_1002
.LBB0_504:                              ;   in Loop: Header=BB0_85 Depth=2
	s_or_b32 exec_lo, exec_lo, s20
	s_cbranch_execnz .LBB0_994
; %bb.505:                              ;   in Loop: Header=BB0_85 Depth=2
	ds_load_b64 v[17:18], v0
	v_add_co_u32 v2, vcc_lo, v2, v100
	v_add_co_ci_u32_e32 v3, vcc_lo, v3, v103, vcc_lo
	s_mov_b32 s20, exec_lo
	s_waitcnt lgkmcnt(0)
	s_delay_alu instid0(VALU_DEP_1)
	v_cmpx_lt_u64_e64 v[17:18], v[2:3]
	s_cbranch_execz .LBB0_516
; %bb.506:                              ;   in Loop: Header=BB0_85 Depth=2
	s_mov_b32 s21, 0
	s_mov_b32 s24, 0
                                        ; implicit-def: $sgpr22
                                        ; implicit-def: $sgpr23
	s_branch .LBB0_508
.LBB0_507:                              ;   in Loop: Header=BB0_508 Depth=3
	s_or_b32 exec_lo, exec_lo, s27
	s_delay_alu instid0(SALU_CYCLE_1) | instskip(NEXT) | instid1(SALU_CYCLE_1)
	s_and_b32 s25, exec_lo, s26
	s_or_b32 s21, s25, s21
	s_and_not1_b32 s22, s22, exec_lo
	s_and_b32 s25, s23, exec_lo
	s_delay_alu instid0(SALU_CYCLE_1)
	s_or_b32 s22, s22, s25
	s_and_not1_b32 exec_lo, exec_lo, s21
	s_cbranch_execz .LBB0_514
.LBB0_508:                              ;   Parent Loop BB0_32 Depth=1
                                        ;     Parent Loop BB0_85 Depth=2
                                        ; =>    This Inner Loop Header: Depth=3
	s_add_i32 s24, s24, 1
                                        ; implicit-def: $sgpr26
	s_delay_alu instid0(SALU_CYCLE_1) | instskip(SKIP_1) | instid1(SALU_CYCLE_1)
	s_cmpk_lg_i32 s24, 0x2710
	s_cselect_b32 s25, -1, 0
	s_and_b32 vcc_lo, exec_lo, s25
	s_cbranch_vccz .LBB0_512
.LBB0_509:                              ;   in Loop: Header=BB0_508 Depth=3
	s_and_not1_b32 s23, s23, exec_lo
	s_and_b32 s27, s26, exec_lo
	s_mov_b32 s26, -1
	s_or_b32 s23, s23, s27
	s_and_saveexec_b32 s27, s25
	s_cbranch_execz .LBB0_507
; %bb.510:                              ;   in Loop: Header=BB0_508 Depth=3
	s_sleep 1
	s_cbranch_execnz .LBB0_1014
; %bb.511:                              ;   in Loop: Header=BB0_508 Depth=3
	ds_load_b64 v[17:18], v0
	s_and_not1_b32 s23, s23, exec_lo
	s_waitcnt lgkmcnt(0)
	v_cmp_ge_u64_e32 vcc_lo, v[17:18], v[2:3]
	s_or_not1_b32 s26, vcc_lo, exec_lo
	s_branch .LBB0_507
.LBB0_512:                              ;   in Loop: Header=BB0_508 Depth=3
	s_cbranch_execnz .LBB0_1016
; %bb.513:                              ;   in Loop: Header=BB0_508 Depth=3
	ds_load_b64 v[17:18], v0
	s_and_not1_b32 s25, s25, exec_lo
	s_mov_b32 s24, 0
	s_mov_b32 s26, -1
	s_waitcnt lgkmcnt(0)
	flat_load_b32 v17, v[17:18] glc
	s_waitcnt vmcnt(0) lgkmcnt(0)
	buffer_gl1_inv
	buffer_gl0_inv
	v_cmp_eq_u32_e32 vcc_lo, 0, v17
	s_and_b32 s27, vcc_lo, exec_lo
	s_delay_alu instid0(SALU_CYCLE_1)
	s_or_b32 s25, s25, s27
	s_branch .LBB0_509
.LBB0_514:                              ;   in Loop: Header=BB0_85 Depth=2
	s_or_b32 exec_lo, exec_lo, s21
	s_and_saveexec_b32 s21, s22
	s_delay_alu instid0(SALU_CYCLE_1)
	s_xor_b32 s21, exec_lo, s21
	s_cbranch_execz .LBB0_516
; %bb.515:                              ;   in Loop: Header=BB0_85 Depth=2
	ds_store_b32 v0, v129
	s_cbranch_execnz .LBB0_1035
.LBB0_516:                              ;   in Loop: Header=BB0_85 Depth=2
	s_or_b32 exec_lo, exec_lo, s20
	;;#ASMSTART
	s_wakeup
	;;#ASMEND
.LBB0_517:                              ;   in Loop: Header=BB0_85 Depth=2
	s_or_b32 exec_lo, exec_lo, s19
.LBB0_518:                              ;   in Loop: Header=BB0_85 Depth=2
	s_and_not1_saveexec_b32 s10, s10
	s_cbranch_execz .LBB0_520
; %bb.519:                              ;   in Loop: Header=BB0_85 Depth=2
	s_waitcnt vmcnt(0) lgkmcnt(0)
	s_waitcnt_vscnt null, 0x0
	buffer_gl1_inv
	buffer_gl0_inv
	s_barrier
.LBB0_520:                              ;   in Loop: Header=BB0_85 Depth=2
	s_or_b32 exec_lo, exec_lo, s10
.LBB0_521:                              ;   in Loop: Header=BB0_85 Depth=2
	s_delay_alu instid0(SALU_CYCLE_1)
	s_or_b32 exec_lo, exec_lo, s9
	s_and_saveexec_b32 s9, s7
	s_cbranch_execz .LBB0_523
; %bb.522:                              ;   in Loop: Header=BB0_85 Depth=2
	v_add_co_u32 v48, vcc_lo, v48, 1
	v_add_co_ci_u32_e32 v49, vcc_lo, 0, v49, vcc_lo
	s_waitcnt vmcnt(0) lgkmcnt(0)
	s_waitcnt_vscnt null, 0x0
	flat_store_b64 v[36:37], v[48:49]
.LBB0_523:                              ;   in Loop: Header=BB0_85 Depth=2
	s_or_b32 exec_lo, exec_lo, s9
	v_and_b32_e32 v54, 0x7ffffff8, v70
	v_cmp_gt_i32_e64 s9, s13, v82
	s_delay_alu instid0(VALU_DEP_2) | instskip(NEXT) | instid1(VALU_DEP_2)
	v_cmp_eq_u64_e32 vcc_lo, 0x7ffffff8, v[54:55]
	s_and_b32 s9, vcc_lo, s9
	s_delay_alu instid0(SALU_CYCLE_1)
	s_and_saveexec_b32 s10, s9
	s_cbranch_execz .LBB0_526
; %bb.524:                              ;   in Loop: Header=BB0_85 Depth=2
	v_and_b32_e32 v17, 7, v135
	v_ashrrev_i32_e32 v83, 31, v82
	v_mov_b32_e32 v21, v70
	s_mov_b32 s19, 0
	s_delay_alu instid0(VALU_DEP_3) | instskip(SKIP_2) | instid1(VALU_DEP_2)
	v_mul_lo_u32 v17, s13, v17
	s_waitcnt vmcnt(0) lgkmcnt(0)
	v_lshlrev_b64 v[19:20], 4, v[82:83]
	v_ashrrev_i32_e32 v18, 31, v17
	s_delay_alu instid0(VALU_DEP_1) | instskip(NEXT) | instid1(VALU_DEP_1)
	v_lshlrev_b64 v[17:18], 4, v[17:18]
	v_add_co_u32 v19, vcc_lo, v19, v17
	s_delay_alu instid0(VALU_DEP_2) | instskip(SKIP_2) | instid1(VALU_DEP_4)
	v_add_co_ci_u32_e32 v20, vcc_lo, v20, v18, vcc_lo
	v_add_co_u32 v17, vcc_lo, 0, 0
	v_add_co_ci_u32_e32 v18, vcc_lo, 1, v21, vcc_lo
	v_add_co_u32 v21, vcc_lo, v38, v19
	s_delay_alu instid0(VALU_DEP_4)
	v_add_co_ci_u32_e32 v22, vcc_lo, v39, v20, vcc_lo
.LBB0_525:                              ;   Parent Loop BB0_32 Depth=1
                                        ;     Parent Loop BB0_85 Depth=2
                                        ; =>    This Inner Loop Header: Depth=3
	s_delay_alu instid0(VALU_DEP_4) | instskip(NEXT) | instid1(VALU_DEP_4)
	v_dual_mov_b32 v19, v17 :: v_dual_add_nc_u32 v82, v82, v1
	v_mov_b32_e32 v20, v18
	s_delay_alu instid0(VALU_DEP_2) | instskip(SKIP_2) | instid1(VALU_DEP_1)
	v_cmp_le_i32_e32 vcc_lo, s13, v82
	global_store_b128 v[21:22], v[17:20], off
	v_add_co_u32 v21, s9, v21, v68
	v_add_co_ci_u32_e64 v22, s9, v22, v69, s9
	s_or_b32 s19, vcc_lo, s19
	s_delay_alu instid0(SALU_CYCLE_1)
	s_and_not1_b32 exec_lo, exec_lo, s19
	s_cbranch_execnz .LBB0_525
.LBB0_526:                              ;   in Loop: Header=BB0_85 Depth=2
	s_or_b32 exec_lo, exec_lo, s10
	v_add_co_u32 v32, vcc_lo, v32, 1
	v_add_co_ci_u32_e32 v33, vcc_lo, 0, v33, vcc_lo
	v_add_co_u32 v70, vcc_lo, v70, 1
	v_add_co_ci_u32_e32 v71, vcc_lo, 0, v71, vcc_lo
	v_add_nc_u16 v135, v135, 1
	s_add_i32 s18, s18, 1
	s_delay_alu instid0(SALU_CYCLE_1)
	s_cmp_eq_u32 s18, s14
	s_cbranch_scc0 .LBB0_85
.LBB0_527:                              ;   in Loop: Header=BB0_32 Depth=1
	s_delay_alu instid0(VALU_DEP_1)
	v_dual_mov_b32 v21, v70 :: v_dual_mov_b32 v22, v71
	s_and_saveexec_b32 s10, s8
	s_cbranch_execz .LBB0_919
; %bb.528:                              ;   in Loop: Header=BB0_32 Depth=1
	flat_load_b32 v54, v[23:24]
	v_and_b32_e32 v17, 7, v32
	s_waitcnt vmcnt(1) lgkmcnt(1)
	v_add_co_u32 v19, vcc_lo, v11, v133
	v_add_co_ci_u32_e32 v20, vcc_lo, v12, v134, vcc_lo
	s_delay_alu instid0(VALU_DEP_3) | instskip(SKIP_1) | instid1(VALU_DEP_1)
	v_mul_lo_u32 v17, v17, s13
	s_mov_b32 s18, 0
	v_ashrrev_i32_e32 v18, 31, v17
	s_delay_alu instid0(VALU_DEP_1)
	v_lshlrev_b64 v[17:18], 4, v[17:18]
	s_waitcnt vmcnt(0) lgkmcnt(0)
	v_ashrrev_i32_e32 v70, 31, v54
	v_mul_lo_u32 v82, v99, v54
	v_mad_u64_u32 v[80:81], null, v98, v54, v[19:20]
	v_add_nc_u32_e32 v54, 1, v32
	s_delay_alu instid0(VALU_DEP_4)
	v_mul_lo_u32 v19, v98, v70
	v_add_co_u32 v70, vcc_lo, v116, v133
	v_add_co_ci_u32_e32 v71, vcc_lo, v117, v134, vcc_lo
	v_add_co_u32 v83, vcc_lo, v29, v17
	v_add_co_ci_u32_e32 v84, vcc_lo, v30, v18, vcc_lo
	v_add3_u32 v19, v82, v81, v19
	v_add_co_u32 v85, vcc_lo, v80, v101
	v_mov_b32_e32 v80, v4
	s_delay_alu instid0(VALU_DEP_3)
	v_add_co_ci_u32_e32 v86, vcc_lo, v19, v112, vcc_lo
	s_branch .LBB0_530
.LBB0_529:                              ;   in Loop: Header=BB0_530 Depth=2
	v_sub_nc_u32_e32 v131, v131, v102
	v_add_co_u32 v85, vcc_lo, v85, v102
	v_add_co_ci_u32_e32 v86, vcc_lo, v86, v113, vcc_lo
	s_delay_alu instid0(VALU_DEP_3) | instskip(SKIP_1) | instid1(VALU_DEP_1)
	v_cmp_gt_i32_e32 vcc_lo, 1, v131
	v_add_co_u32 v70, s8, v70, v102
	v_add_co_ci_u32_e64 v71, s8, v71, v113, s8
	v_add_nc_u32_e32 v80, v80, v1
	s_or_b32 s18, vcc_lo, s18
	s_delay_alu instid0(SALU_CYCLE_1)
	s_and_not1_b32 exec_lo, exec_lo, s18
	s_cbranch_execz .LBB0_918
.LBB0_530:                              ;   Parent Loop BB0_32 Depth=1
                                        ; =>  This Loop Header: Depth=2
                                        ;       Child Loop BB0_538 Depth 3
	s_delay_alu instid0(VALU_DEP_1)
	v_dual_mov_b32 v18, v86 :: v_dual_and_b32 v17, -4, v85
	v_min_u32_e32 v19, 8, v131
	v_dual_mov_b32 v87, 0 :: v_dual_and_b32 v20, 3, v85
	v_mov_b32_e32 v96, 0
	flat_load_b32 v97, v[17:18] glc
	v_add_co_u32 v19, s8, v20, v19
	s_delay_alu instid0(VALU_DEP_1) | instskip(SKIP_1) | instid1(VALU_DEP_1)
	v_add_co_ci_u32_e64 v20, null, 0, 0, s8
	s_mov_b32 s8, exec_lo
	v_cmpx_lt_u64_e32 4, v[19:20]
	s_cbranch_execz .LBB0_532
; %bb.531:                              ;   in Loop: Header=BB0_530 Depth=2
	flat_load_b32 v96, v[17:18] offset:4 glc
.LBB0_532:                              ;   in Loop: Header=BB0_530 Depth=2
	s_or_b32 exec_lo, exec_lo, s8
	s_delay_alu instid0(SALU_CYCLE_1)
	s_mov_b32 s8, exec_lo
	v_cmpx_lt_u64_e32 8, v[19:20]
	s_cbranch_execz .LBB0_534
; %bb.533:                              ;   in Loop: Header=BB0_530 Depth=2
	flat_load_b32 v87, v[17:18] offset:8 glc
.LBB0_534:                              ;   in Loop: Header=BB0_530 Depth=2
	s_or_b32 exec_lo, exec_lo, s8
	v_ashrrev_i32_e32 v81, 31, v80
	s_delay_alu instid0(VALU_DEP_1) | instskip(NEXT) | instid1(VALU_DEP_1)
	v_lshlrev_b64 v[17:18], 4, v[80:81]
	v_add_co_u32 v81, vcc_lo, v83, v17
	s_delay_alu instid0(VALU_DEP_2)
	v_add_co_ci_u32_e32 v82, vcc_lo, v84, v18, vcc_lo
	v_cmp_eq_u32_e32 vcc_lo, 0, v130
	;;#ASMSTART
	global_load_b128 v[17:20], v[81:82], off glc slc dlc
s_waitcnt vmcnt(0)

	;;#ASMEND
	s_and_saveexec_b32 s19, vcc_lo
	s_cbranch_execz .LBB0_548
; %bb.535:                              ;   in Loop: Header=BB0_530 Depth=2
	v_cmp_ne_u32_e64 s8, v54, v18
	v_cmp_ne_u32_e64 s9, v54, v20
	v_mov_b32_e32 v130, 0
	s_delay_alu instid0(VALU_DEP_2) | instskip(NEXT) | instid1(SALU_CYCLE_1)
	s_or_b32 s8, s8, s9
	s_and_saveexec_b32 s9, s8
	s_cbranch_execz .LBB0_547
; %bb.536:                              ;   in Loop: Header=BB0_530 Depth=2
	v_cndmask_b32_e64 v132, 0, 1, vcc_lo
	s_mov_b32 s20, 0
                                        ; implicit-def: $sgpr21
                                        ; implicit-def: $sgpr22
	s_branch .LBB0_538
.LBB0_537:                              ;   in Loop: Header=BB0_538 Depth=3
	s_or_b32 exec_lo, exec_lo, s23
	s_delay_alu instid0(SALU_CYCLE_1) | instskip(NEXT) | instid1(SALU_CYCLE_1)
	s_and_b32 s8, exec_lo, s8
	s_or_b32 s20, s8, s20
	s_and_not1_b32 s8, s21, exec_lo
	s_and_b32 s21, s22, exec_lo
	s_delay_alu instid0(SALU_CYCLE_1)
	s_or_b32 s21, s8, s21
	s_and_not1_b32 exec_lo, exec_lo, s20
	s_cbranch_execz .LBB0_546
.LBB0_538:                              ;   Parent Loop BB0_32 Depth=1
                                        ;     Parent Loop BB0_530 Depth=2
                                        ; =>    This Inner Loop Header: Depth=3
	s_delay_alu instid0(VALU_DEP_1)
	v_add_nc_u32_e32 v132, 1, v132
	v_mov_b32_e32 v130, 0
	s_mov_b32 s8, -1
	s_mov_b32 s24, -1
	s_mov_b32 s23, exec_lo
	;;#ASMSTART
	global_load_b128 v[17:20], v[81:82], off glc slc dlc
s_waitcnt vmcnt(0)

	;;#ASMEND
	v_cmpx_eq_u32_e32 0x2710, v132
	s_cbranch_execz .LBB0_544
; %bb.539:                              ;   in Loop: Header=BB0_538 Depth=3
	s_cbranch_execnz .LBB0_961
; %bb.540:                              ;   in Loop: Header=BB0_538 Depth=3
	ds_load_b64 v[132:133], v0
	v_mov_b32_e32 v130, 0
	s_mov_b32 s25, -1
	s_mov_b32 s24, exec_lo
	s_waitcnt vmcnt(0) lgkmcnt(0)
	s_waitcnt_vscnt null, 0x0
	flat_load_b32 v133, v[132:133] glc
	s_waitcnt vmcnt(0) lgkmcnt(0)
	buffer_gl1_inv
	buffer_gl0_inv
	v_mov_b32_e32 v132, 0
	v_cmpx_ne_u32_e32 0, v133
	s_cbranch_execz .LBB0_543
; %bb.541:                              ;   in Loop: Header=BB0_538 Depth=3
	ds_store_b32 v0, v133
	s_cbranch_execnz .LBB0_973
; %bb.542:                              ;   in Loop: Header=BB0_538 Depth=3
	v_mov_b32_e32 v130, 1
	s_xor_b32 s25, exec_lo, -1
.LBB0_543:                              ;   in Loop: Header=BB0_538 Depth=3
	s_or_b32 exec_lo, exec_lo, s24
	s_delay_alu instid0(SALU_CYCLE_1)
	s_or_not1_b32 s24, s25, exec_lo
.LBB0_544:                              ;   in Loop: Header=BB0_538 Depth=3
	s_or_b32 exec_lo, exec_lo, s23
	s_delay_alu instid0(SALU_CYCLE_1)
	s_or_b32 s22, s22, exec_lo
	s_and_saveexec_b32 s23, s24
	s_cbranch_execz .LBB0_537
; %bb.545:                              ;   in Loop: Header=BB0_538 Depth=3
	v_cmp_eq_u32_e32 vcc_lo, v54, v18
	v_cmp_eq_u32_e64 s8, v54, v20
	s_and_not1_b32 s22, s22, exec_lo
	s_delay_alu instid0(VALU_DEP_1) | instskip(NEXT) | instid1(SALU_CYCLE_1)
	s_and_b32 s8, vcc_lo, s8
	s_or_not1_b32 s8, s8, exec_lo
	s_branch .LBB0_537
.LBB0_546:                              ;   in Loop: Header=BB0_530 Depth=2
	s_or_b32 exec_lo, exec_lo, s20
	s_xor_b32 s8, s21, -1
	s_delay_alu instid0(SALU_CYCLE_1) | instskip(NEXT) | instid1(SALU_CYCLE_1)
	s_and_saveexec_b32 s20, s8
	s_xor_b32 s8, exec_lo, s20
	s_delay_alu instid0(SALU_CYCLE_1) | instskip(NEXT) | instid1(SALU_CYCLE_1)
	s_and_not1_saveexec_b32 s8, s8
	s_or_b32 exec_lo, exec_lo, s8
.LBB0_547:                              ;   in Loop: Header=BB0_530 Depth=2
	s_delay_alu instid0(SALU_CYCLE_1)
	s_or_b32 exec_lo, exec_lo, s9
.LBB0_548:                              ;   in Loop: Header=BB0_530 Depth=2
	s_delay_alu instid0(SALU_CYCLE_1) | instskip(SKIP_2) | instid1(VALU_DEP_1)
	s_or_b32 exec_lo, exec_lo, s19
	v_lshlrev_b32_e32 v18, 3, v85
                                        ; implicit-def: $vgpr81
	s_waitcnt vmcnt(0) lgkmcnt(0)
	v_alignbit_b32 v97, v96, v97, v18
	s_and_saveexec_b32 s8, s6
	s_delay_alu instid0(SALU_CYCLE_1)
	s_xor_b32 s8, exec_lo, s8
	s_cbranch_execz .LBB0_558
; %bb.549:                              ;   in Loop: Header=BB0_530 Depth=2
	v_and_b32_e32 v81, 0xff, v17
	s_mov_b32 s9, 0
	s_mov_b32 s20, exec_lo
                                        ; implicit-def: $sgpr19
	s_delay_alu instid0(VALU_DEP_1)
	v_cmpx_lt_i16_e32 0x7f, v81
	s_xor_b32 s20, exec_lo, s20
	s_cbranch_execnz .LBB0_790
; %bb.550:                              ;   in Loop: Header=BB0_530 Depth=2
	s_or_saveexec_b32 s20, s20
	v_mov_b32_e32 v20, s19
	s_xor_b32 exec_lo, exec_lo, s20
	s_cbranch_execnz .LBB0_793
.LBB0_551:                              ;   in Loop: Header=BB0_530 Depth=2
	s_or_b32 exec_lo, exec_lo, s20
	s_and_saveexec_b32 s19, s9
	s_cbranch_execz .LBB0_553
.LBB0_552:                              ;   in Loop: Header=BB0_530 Depth=2
	v_and_b32_e32 v20, 3, v17
	v_bfe_u32 v132, v17, 2, 5
	s_delay_alu instid0(VALU_DEP_2) | instskip(NEXT) | instid1(VALU_DEP_2)
	v_clz_i32_u32_e32 v81, v20
	v_cmp_eq_u32_e32 vcc_lo, 0, v132
	s_delay_alu instid0(VALU_DEP_2) | instskip(NEXT) | instid1(VALU_DEP_1)
	v_min_u32_e32 v81, 32, v81
	v_subrev_nc_u32_e32 v82, 29, v81
	v_sub_nc_u32_e32 v81, 30, v81
	s_delay_alu instid0(VALU_DEP_2) | instskip(NEXT) | instid1(VALU_DEP_1)
	v_lshlrev_b32_e32 v82, v82, v17
	v_dual_cndmask_b32 v81, v132, v81 :: v_dual_and_b32 v82, 3, v82
	v_lshlrev_b32_e32 v133, 24, v17
	s_delay_alu instid0(VALU_DEP_2) | instskip(NEXT) | instid1(VALU_DEP_3)
	v_lshl_add_u32 v81, v81, 23, 0x37800000
	v_cndmask_b32_e32 v20, v20, v82, vcc_lo
	s_delay_alu instid0(VALU_DEP_3) | instskip(NEXT) | instid1(VALU_DEP_2)
	v_and_b32_e32 v82, 0x80000000, v133
	v_lshlrev_b32_e32 v20, 21, v20
	s_delay_alu instid0(VALU_DEP_1)
	v_or3_b32 v20, v82, v81, v20
.LBB0_553:                              ;   in Loop: Header=BB0_530 Depth=2
	s_or_b32 exec_lo, exec_lo, s19
	v_and_b32_e32 v82, 0xff, v97
	s_mov_b32 s9, 0
	s_mov_b32 s20, exec_lo
                                        ; implicit-def: $sgpr19
	s_delay_alu instid0(VALU_DEP_1)
	v_cmpx_lt_i16_e32 0x7f, v82
	s_xor_b32 s20, exec_lo, s20
	s_cbranch_execnz .LBB0_794
; %bb.554:                              ;   in Loop: Header=BB0_530 Depth=2
	s_or_saveexec_b32 s20, s20
	v_mov_b32_e32 v81, s19
	s_xor_b32 exec_lo, exec_lo, s20
	s_cbranch_execnz .LBB0_797
.LBB0_555:                              ;   in Loop: Header=BB0_530 Depth=2
	s_or_b32 exec_lo, exec_lo, s20
	s_and_saveexec_b32 s19, s9
	s_cbranch_execz .LBB0_557
.LBB0_556:                              ;   in Loop: Header=BB0_530 Depth=2
	v_bfe_u32 v133, v97, 2, 5
	s_delay_alu instid0(VALU_DEP_1) | instskip(SKIP_1) | instid1(VALU_DEP_1)
	v_cmp_eq_u32_e32 vcc_lo, 0, v133
	v_and_b32_e32 v81, 3, v97
	v_clz_i32_u32_e32 v82, v81
	s_delay_alu instid0(VALU_DEP_1) | instskip(NEXT) | instid1(VALU_DEP_1)
	v_min_u32_e32 v82, 32, v82
	v_subrev_nc_u32_e32 v132, 29, v82
	v_sub_nc_u32_e32 v82, 30, v82
	s_delay_alu instid0(VALU_DEP_2) | instskip(NEXT) | instid1(VALU_DEP_2)
	v_lshlrev_b32_e32 v132, v132, v97
	v_cndmask_b32_e32 v82, v133, v82, vcc_lo
	s_delay_alu instid0(VALU_DEP_2) | instskip(SKIP_1) | instid1(VALU_DEP_3)
	v_and_b32_e32 v132, 3, v132
	v_lshlrev_b32_e32 v134, 24, v97
	v_lshl_add_u32 v82, v82, 23, 0x37800000
	s_delay_alu instid0(VALU_DEP_2) | instskip(NEXT) | instid1(VALU_DEP_1)
	v_dual_cndmask_b32 v81, v81, v132 :: v_dual_and_b32 v132, 0x80000000, v134
	v_lshlrev_b32_e32 v81, 21, v81
	s_delay_alu instid0(VALU_DEP_1)
	v_or3_b32 v81, v132, v82, v81
.LBB0_557:                              ;   in Loop: Header=BB0_530 Depth=2
	s_or_b32 exec_lo, exec_lo, s19
	s_delay_alu instid0(VALU_DEP_1) | instskip(NEXT) | instid1(VALU_DEP_1)
	v_dual_max_f32 v81, v81, v81 :: v_dual_max_f32 v20, v20, v20
	v_max_f32_e32 v81, v20, v81
.LBB0_558:                              ;   in Loop: Header=BB0_530 Depth=2
	s_and_not1_saveexec_b32 s8, s8
	s_cbranch_execz .LBB0_568
; %bb.559:                              ;   in Loop: Header=BB0_530 Depth=2
	v_and_b32_e32 v81, 0xff, v17
	s_mov_b32 s9, 0
	s_mov_b32 s20, exec_lo
                                        ; implicit-def: $sgpr19
	s_delay_alu instid0(VALU_DEP_1)
	v_cmpx_lt_i16_e32 0x7f, v81
	s_xor_b32 s20, exec_lo, s20
	s_cbranch_execnz .LBB0_798
; %bb.560:                              ;   in Loop: Header=BB0_530 Depth=2
	s_or_saveexec_b32 s20, s20
	v_mov_b32_e32 v20, s19
	s_xor_b32 exec_lo, exec_lo, s20
	s_cbranch_execnz .LBB0_801
.LBB0_561:                              ;   in Loop: Header=BB0_530 Depth=2
	s_or_b32 exec_lo, exec_lo, s20
	s_and_saveexec_b32 s19, s9
	s_cbranch_execz .LBB0_563
.LBB0_562:                              ;   in Loop: Header=BB0_530 Depth=2
	v_and_b32_e32 v20, 3, v17
	v_bfe_u32 v132, v17, 2, 5
	s_delay_alu instid0(VALU_DEP_2) | instskip(NEXT) | instid1(VALU_DEP_2)
	v_clz_i32_u32_e32 v81, v20
	v_cmp_eq_u32_e32 vcc_lo, 0, v132
	s_delay_alu instid0(VALU_DEP_2) | instskip(NEXT) | instid1(VALU_DEP_1)
	v_min_u32_e32 v81, 32, v81
	v_subrev_nc_u32_e32 v82, 29, v81
	v_sub_nc_u32_e32 v81, 30, v81
	s_delay_alu instid0(VALU_DEP_2) | instskip(NEXT) | instid1(VALU_DEP_1)
	v_lshlrev_b32_e32 v82, v82, v17
	v_dual_cndmask_b32 v81, v132, v81 :: v_dual_and_b32 v82, 3, v82
	v_lshlrev_b32_e32 v133, 24, v17
	s_delay_alu instid0(VALU_DEP_2) | instskip(NEXT) | instid1(VALU_DEP_3)
	v_lshl_add_u32 v81, v81, 23, 0x37800000
	v_cndmask_b32_e32 v20, v20, v82, vcc_lo
	s_delay_alu instid0(VALU_DEP_3) | instskip(NEXT) | instid1(VALU_DEP_2)
	v_and_b32_e32 v82, 0x80000000, v133
	v_lshlrev_b32_e32 v20, 21, v20
	s_delay_alu instid0(VALU_DEP_1)
	v_or3_b32 v20, v82, v81, v20
.LBB0_563:                              ;   in Loop: Header=BB0_530 Depth=2
	s_or_b32 exec_lo, exec_lo, s19
	v_and_b32_e32 v82, 0xff, v97
	s_mov_b32 s9, 0
	s_mov_b32 s20, exec_lo
                                        ; implicit-def: $sgpr19
	s_delay_alu instid0(VALU_DEP_1)
	v_cmpx_lt_i16_e32 0x7f, v82
	s_xor_b32 s20, exec_lo, s20
	s_cbranch_execnz .LBB0_802
; %bb.564:                              ;   in Loop: Header=BB0_530 Depth=2
	s_or_saveexec_b32 s20, s20
	v_mov_b32_e32 v81, s19
	s_xor_b32 exec_lo, exec_lo, s20
	s_cbranch_execnz .LBB0_805
.LBB0_565:                              ;   in Loop: Header=BB0_530 Depth=2
	s_or_b32 exec_lo, exec_lo, s20
	s_and_saveexec_b32 s19, s9
	s_cbranch_execz .LBB0_567
.LBB0_566:                              ;   in Loop: Header=BB0_530 Depth=2
	v_bfe_u32 v133, v97, 2, 5
	s_delay_alu instid0(VALU_DEP_1) | instskip(SKIP_1) | instid1(VALU_DEP_1)
	v_cmp_eq_u32_e32 vcc_lo, 0, v133
	v_and_b32_e32 v81, 3, v97
	v_clz_i32_u32_e32 v82, v81
	s_delay_alu instid0(VALU_DEP_1) | instskip(NEXT) | instid1(VALU_DEP_1)
	v_min_u32_e32 v82, 32, v82
	v_subrev_nc_u32_e32 v132, 29, v82
	v_sub_nc_u32_e32 v82, 30, v82
	s_delay_alu instid0(VALU_DEP_2) | instskip(NEXT) | instid1(VALU_DEP_2)
	v_lshlrev_b32_e32 v132, v132, v97
	v_cndmask_b32_e32 v82, v133, v82, vcc_lo
	s_delay_alu instid0(VALU_DEP_2) | instskip(SKIP_1) | instid1(VALU_DEP_3)
	v_and_b32_e32 v132, 3, v132
	v_lshlrev_b32_e32 v134, 24, v97
	v_lshl_add_u32 v82, v82, 23, 0x37800000
	s_delay_alu instid0(VALU_DEP_2) | instskip(NEXT) | instid1(VALU_DEP_1)
	v_dual_cndmask_b32 v81, v81, v132 :: v_dual_and_b32 v132, 0x80000000, v134
	v_lshlrev_b32_e32 v81, 21, v81
	s_delay_alu instid0(VALU_DEP_1)
	v_or3_b32 v81, v132, v82, v81
.LBB0_567:                              ;   in Loop: Header=BB0_530 Depth=2
	s_or_b32 exec_lo, exec_lo, s19
	s_delay_alu instid0(VALU_DEP_1) | instskip(NEXT) | instid1(VALU_DEP_1)
	v_dual_max_f32 v81, v81, v81 :: v_dual_max_f32 v20, v20, v20
	v_min_f32_e32 v81, v20, v81
.LBB0_568:                              ;   in Loop: Header=BB0_530 Depth=2
	s_or_b32 exec_lo, exec_lo, s8
	s_delay_alu instid0(VALU_DEP_1) | instskip(NEXT) | instid1(VALU_DEP_1)
	v_and_b32_e32 v20, 0x7f800000, v81
	v_cmp_ne_u32_e32 vcc_lo, 0x7f800000, v20
	v_mov_b32_e32 v20, 0x80
	s_and_saveexec_b32 s9, vcc_lo
	s_cbranch_execz .LBB0_576
; %bb.569:                              ;   in Loop: Header=BB0_530 Depth=2
	v_mov_b32_e32 v20, 0
	s_mov_b32 s19, exec_lo
	v_cmpx_ne_u32_e32 0, v81
	s_cbranch_execz .LBB0_575
; %bb.570:                              ;   in Loop: Header=BB0_530 Depth=2
	v_bfe_u32 v20, v81, 23, 8
	v_and_b32_e32 v82, 0x7fffff, v81
	s_delay_alu instid0(VALU_DEP_2) | instskip(SKIP_1) | instid1(VALU_DEP_3)
	v_sub_nc_u32_e32 v132, 0x70, v20
	v_cmp_gt_u32_e32 vcc_lo, 0x71, v20
	v_or_b32_e32 v133, 0x800000, v82
	s_delay_alu instid0(VALU_DEP_3) | instskip(SKIP_2) | instid1(VALU_DEP_3)
	v_cndmask_b32_e32 v132, 0, v132, vcc_lo
	v_cmp_eq_u32_e32 vcc_lo, 0, v20
	v_add_nc_u32_e32 v20, 0xffffff91, v20
	v_cndmask_b32_e64 v132, v132, 0x6f, vcc_lo
	v_cndmask_b32_e32 v82, v133, v82, vcc_lo
	s_delay_alu instid0(VALU_DEP_3) | instskip(NEXT) | instid1(VALU_DEP_3)
	v_cndmask_b32_e64 v20, v20, 0xffffff92, vcc_lo
	v_lshl_add_u32 v133, 0x200000, v132, -1
	s_delay_alu instid0(VALU_DEP_3) | instskip(SKIP_1) | instid1(VALU_DEP_4)
	v_lshrrev_b32_e32 v134, v132, v82
	v_lshlrev_b32_e64 v144, v132, 0x100000
	v_add_nc_u32_e32 v132, v132, v20
	s_delay_alu instid0(VALU_DEP_4) | instskip(NEXT) | instid1(VALU_DEP_4)
	v_and_b32_e32 v82, v133, v82
	v_bfe_u32 v135, v134, 21, 1
	s_delay_alu instid0(VALU_DEP_2) | instskip(NEXT) | instid1(VALU_DEP_2)
	v_cmp_eq_u32_e64 s8, v82, v144
	v_add_nc_u32_e32 v133, -1, v135
	s_delay_alu instid0(VALU_DEP_1) | instskip(SKIP_2) | instid1(VALU_DEP_2)
	v_cndmask_b32_e64 v82, 0, v133, s8
	v_lshrrev_b32_e32 v133, 23, v134
	s_mov_b32 s8, exec_lo
	v_add_nc_u32_e32 v82, v82, v134
	s_delay_alu instid0(VALU_DEP_2) | instskip(NEXT) | instid1(VALU_DEP_2)
	v_xor_b32_e32 v133, 1, v133
	v_and_b32_e32 v20, 0x1fffff, v82
	s_delay_alu instid0(VALU_DEP_1) | instskip(NEXT) | instid1(VALU_DEP_3)
	v_add_nc_u32_e32 v82, v20, v134
                                        ; implicit-def: $vgpr20
	v_cmpx_ne_u32_e64 v132, v133
	s_xor_b32 s8, exec_lo, s8
; %bb.571:                              ;   in Loop: Header=BB0_530 Depth=2
	s_delay_alu instid0(VALU_DEP_2) | instskip(SKIP_2) | instid1(VALU_DEP_2)
	v_cmp_lt_u32_e32 vcc_lo, 0xffffff, v82
	v_sub_nc_u32_e32 v20, v132, v133
	v_cndmask_b32_e64 v132, 0, 1, vcc_lo
	v_add_co_ci_u32_e32 v20, vcc_lo, 0, v20, vcc_lo
	s_delay_alu instid0(VALU_DEP_2)
	v_lshrrev_b32_e32 v82, v132, v82
; %bb.572:                              ;   in Loop: Header=BB0_530 Depth=2
	s_and_not1_saveexec_b32 s8, s8
; %bb.573:                              ;   in Loop: Header=BB0_530 Depth=2
	s_delay_alu instid0(VALU_DEP_1)
	v_bfe_u32 v20, v82, 23, 1
; %bb.574:                              ;   in Loop: Header=BB0_530 Depth=2
	s_or_b32 exec_lo, exec_lo, s8
	v_lshrrev_b32_e32 v82, 21, v82
	s_delay_alu instid0(VALU_DEP_2) | instskip(SKIP_2) | instid1(VALU_DEP_2)
	v_cmp_gt_i32_e32 vcc_lo, 32, v20
	v_lshrrev_b32_e32 v81, 24, v81
	v_min_i32_e32 v132, 31, v20
	v_dual_cndmask_b32 v82, 3, v82 :: v_dual_and_b32 v81, 0x80, v81
	s_delay_alu instid0(VALU_DEP_2) | instskip(NEXT) | instid1(VALU_DEP_2)
	v_lshlrev_b32_e32 v132, 2, v132
	v_or_b32_e32 v20, v20, v82
	s_delay_alu instid0(VALU_DEP_1) | instskip(SKIP_1) | instid1(VALU_DEP_1)
	v_cmp_ne_u32_e32 vcc_lo, 0, v20
	v_and_b32_e32 v133, 3, v82
	v_or3_b32 v81, v132, v81, v133
	s_delay_alu instid0(VALU_DEP_1)
	v_cndmask_b32_e32 v20, 0, v81, vcc_lo
.LBB0_575:                              ;   in Loop: Header=BB0_530 Depth=2
	s_or_b32 exec_lo, exec_lo, s19
.LBB0_576:                              ;   in Loop: Header=BB0_530 Depth=2
	s_delay_alu instid0(SALU_CYCLE_1) | instskip(SKIP_3) | instid1(SALU_CYCLE_1)
	s_or_b32 exec_lo, exec_lo, s9
	v_lshrrev_b16 v82, 8, v17
	v_lshrrev_b16 v81, 8, v97
                                        ; implicit-def: $vgpr132
	s_and_saveexec_b32 s8, s6
	s_xor_b32 s8, exec_lo, s8
	s_cbranch_execz .LBB0_586
; %bb.577:                              ;   in Loop: Header=BB0_530 Depth=2
	s_mov_b32 s9, 0
	s_mov_b32 s20, exec_lo
                                        ; implicit-def: $sgpr19
	v_cmpx_lt_i16_e32 0x7f, v82
	s_xor_b32 s20, exec_lo, s20
	s_cbranch_execnz .LBB0_806
; %bb.578:                              ;   in Loop: Header=BB0_530 Depth=2
	s_or_saveexec_b32 s20, s20
	v_mov_b32_e32 v132, s19
	s_xor_b32 exec_lo, exec_lo, s20
	s_cbranch_execnz .LBB0_809
.LBB0_579:                              ;   in Loop: Header=BB0_530 Depth=2
	s_or_b32 exec_lo, exec_lo, s20
	s_and_saveexec_b32 s19, s9
	s_cbranch_execz .LBB0_581
.LBB0_580:                              ;   in Loop: Header=BB0_530 Depth=2
	v_and_b32_e32 v82, 0xffff, v82
	s_delay_alu instid0(VALU_DEP_1) | instskip(NEXT) | instid1(VALU_DEP_1)
	v_and_b32_e32 v132, 3, v82
	v_clz_i32_u32_e32 v133, v132
	s_delay_alu instid0(VALU_DEP_1) | instskip(NEXT) | instid1(VALU_DEP_1)
	v_min_u32_e32 v133, 32, v133
	v_subrev_nc_u32_e32 v134, 29, v133
	v_sub_nc_u32_e32 v133, 30, v133
	s_delay_alu instid0(VALU_DEP_2) | instskip(SKIP_1) | instid1(VALU_DEP_2)
	v_lshlrev_b32_e32 v134, v134, v82
	v_bfe_u32 v82, v82, 2, 5
	v_and_b32_e32 v134, 3, v134
	s_delay_alu instid0(VALU_DEP_2) | instskip(NEXT) | instid1(VALU_DEP_2)
	v_cmp_eq_u32_e32 vcc_lo, 0, v82
	v_dual_cndmask_b32 v132, v132, v134 :: v_dual_lshlrev_b32 v135, 16, v17
	s_delay_alu instid0(VALU_DEP_1) | instskip(NEXT) | instid1(VALU_DEP_2)
	v_dual_cndmask_b32 v82, v82, v133 :: v_dual_and_b32 v133, 0x80000000, v135
	v_lshlrev_b32_e32 v132, 21, v132
	s_delay_alu instid0(VALU_DEP_2) | instskip(NEXT) | instid1(VALU_DEP_1)
	v_lshl_add_u32 v82, v82, 23, 0x37800000
	v_or3_b32 v132, v133, v82, v132
.LBB0_581:                              ;   in Loop: Header=BB0_530 Depth=2
	s_or_b32 exec_lo, exec_lo, s19
	s_mov_b32 s9, 0
	s_mov_b32 s20, exec_lo
                                        ; implicit-def: $sgpr19
	v_cmpx_lt_i16_e32 0x7f, v81
	s_xor_b32 s20, exec_lo, s20
	s_cbranch_execnz .LBB0_810
; %bb.582:                              ;   in Loop: Header=BB0_530 Depth=2
	s_or_saveexec_b32 s20, s20
	v_mov_b32_e32 v82, s19
	s_xor_b32 exec_lo, exec_lo, s20
	s_cbranch_execnz .LBB0_813
.LBB0_583:                              ;   in Loop: Header=BB0_530 Depth=2
	s_or_b32 exec_lo, exec_lo, s20
	s_and_saveexec_b32 s19, s9
	s_cbranch_execz .LBB0_585
.LBB0_584:                              ;   in Loop: Header=BB0_530 Depth=2
	v_and_b32_e32 v81, 0xffff, v81
	v_lshlrev_b32_e32 v135, 16, v97
	s_delay_alu instid0(VALU_DEP_2) | instskip(NEXT) | instid1(VALU_DEP_1)
	v_and_b32_e32 v82, 3, v81
	v_clz_i32_u32_e32 v133, v82
	s_delay_alu instid0(VALU_DEP_1) | instskip(NEXT) | instid1(VALU_DEP_1)
	v_min_u32_e32 v133, 32, v133
	v_subrev_nc_u32_e32 v134, 29, v133
	v_sub_nc_u32_e32 v133, 30, v133
	s_delay_alu instid0(VALU_DEP_2) | instskip(SKIP_1) | instid1(VALU_DEP_1)
	v_lshlrev_b32_e32 v134, v134, v81
	v_bfe_u32 v81, v81, 2, 5
	v_cmp_eq_u32_e32 vcc_lo, 0, v81
	s_delay_alu instid0(VALU_DEP_3) | instskip(NEXT) | instid1(VALU_DEP_1)
	v_dual_cndmask_b32 v81, v81, v133 :: v_dual_and_b32 v134, 3, v134
	v_dual_cndmask_b32 v82, v82, v134 :: v_dual_and_b32 v133, 0x80000000, v135
	s_delay_alu instid0(VALU_DEP_2) | instskip(NEXT) | instid1(VALU_DEP_2)
	v_lshl_add_u32 v81, v81, 23, 0x37800000
	v_lshlrev_b32_e32 v82, 21, v82
	s_delay_alu instid0(VALU_DEP_1)
	v_or3_b32 v82, v133, v81, v82
.LBB0_585:                              ;   in Loop: Header=BB0_530 Depth=2
	s_or_b32 exec_lo, exec_lo, s19
	s_delay_alu instid0(VALU_DEP_1) | instskip(NEXT) | instid1(VALU_DEP_1)
	v_dual_max_f32 v81, v82, v82 :: v_dual_max_f32 v82, v132, v132
	v_max_f32_e32 v132, v82, v81
                                        ; implicit-def: $vgpr81
                                        ; implicit-def: $vgpr82
.LBB0_586:                              ;   in Loop: Header=BB0_530 Depth=2
	s_and_not1_saveexec_b32 s8, s8
	s_cbranch_execz .LBB0_596
; %bb.587:                              ;   in Loop: Header=BB0_530 Depth=2
	s_mov_b32 s9, 0
	s_mov_b32 s20, exec_lo
                                        ; implicit-def: $sgpr19
	v_cmpx_lt_i16_e32 0x7f, v82
	s_xor_b32 s20, exec_lo, s20
	s_cbranch_execnz .LBB0_814
; %bb.588:                              ;   in Loop: Header=BB0_530 Depth=2
	s_or_saveexec_b32 s20, s20
	v_mov_b32_e32 v132, s19
	s_xor_b32 exec_lo, exec_lo, s20
	s_cbranch_execnz .LBB0_817
.LBB0_589:                              ;   in Loop: Header=BB0_530 Depth=2
	s_or_b32 exec_lo, exec_lo, s20
	s_and_saveexec_b32 s19, s9
	s_cbranch_execz .LBB0_591
.LBB0_590:                              ;   in Loop: Header=BB0_530 Depth=2
	v_and_b32_e32 v82, 0xffff, v82
	s_delay_alu instid0(VALU_DEP_1) | instskip(NEXT) | instid1(VALU_DEP_1)
	v_and_b32_e32 v132, 3, v82
	v_clz_i32_u32_e32 v133, v132
	s_delay_alu instid0(VALU_DEP_1) | instskip(NEXT) | instid1(VALU_DEP_1)
	v_min_u32_e32 v133, 32, v133
	v_subrev_nc_u32_e32 v134, 29, v133
	v_sub_nc_u32_e32 v133, 30, v133
	s_delay_alu instid0(VALU_DEP_2) | instskip(SKIP_1) | instid1(VALU_DEP_2)
	v_lshlrev_b32_e32 v134, v134, v82
	v_bfe_u32 v82, v82, 2, 5
	v_and_b32_e32 v134, 3, v134
	s_delay_alu instid0(VALU_DEP_2) | instskip(NEXT) | instid1(VALU_DEP_2)
	v_cmp_eq_u32_e32 vcc_lo, 0, v82
	v_dual_cndmask_b32 v132, v132, v134 :: v_dual_lshlrev_b32 v135, 16, v17
	s_delay_alu instid0(VALU_DEP_1) | instskip(NEXT) | instid1(VALU_DEP_2)
	v_dual_cndmask_b32 v82, v82, v133 :: v_dual_and_b32 v133, 0x80000000, v135
	v_lshlrev_b32_e32 v132, 21, v132
	s_delay_alu instid0(VALU_DEP_2) | instskip(NEXT) | instid1(VALU_DEP_1)
	v_lshl_add_u32 v82, v82, 23, 0x37800000
	v_or3_b32 v132, v133, v82, v132
.LBB0_591:                              ;   in Loop: Header=BB0_530 Depth=2
	s_or_b32 exec_lo, exec_lo, s19
	s_mov_b32 s9, 0
	s_mov_b32 s20, exec_lo
                                        ; implicit-def: $sgpr19
	v_cmpx_lt_i16_e32 0x7f, v81
	s_xor_b32 s20, exec_lo, s20
	s_cbranch_execnz .LBB0_818
; %bb.592:                              ;   in Loop: Header=BB0_530 Depth=2
	s_or_saveexec_b32 s20, s20
	v_mov_b32_e32 v82, s19
	s_xor_b32 exec_lo, exec_lo, s20
	s_cbranch_execnz .LBB0_821
.LBB0_593:                              ;   in Loop: Header=BB0_530 Depth=2
	s_or_b32 exec_lo, exec_lo, s20
	s_and_saveexec_b32 s19, s9
	s_cbranch_execz .LBB0_595
.LBB0_594:                              ;   in Loop: Header=BB0_530 Depth=2
	v_and_b32_e32 v81, 0xffff, v81
	v_lshlrev_b32_e32 v135, 16, v97
	s_delay_alu instid0(VALU_DEP_2) | instskip(NEXT) | instid1(VALU_DEP_1)
	v_and_b32_e32 v82, 3, v81
	v_clz_i32_u32_e32 v133, v82
	s_delay_alu instid0(VALU_DEP_1) | instskip(NEXT) | instid1(VALU_DEP_1)
	v_min_u32_e32 v133, 32, v133
	v_subrev_nc_u32_e32 v134, 29, v133
	v_sub_nc_u32_e32 v133, 30, v133
	s_delay_alu instid0(VALU_DEP_2) | instskip(SKIP_1) | instid1(VALU_DEP_1)
	v_lshlrev_b32_e32 v134, v134, v81
	v_bfe_u32 v81, v81, 2, 5
	v_cmp_eq_u32_e32 vcc_lo, 0, v81
	s_delay_alu instid0(VALU_DEP_3) | instskip(NEXT) | instid1(VALU_DEP_1)
	v_dual_cndmask_b32 v81, v81, v133 :: v_dual_and_b32 v134, 3, v134
	v_dual_cndmask_b32 v82, v82, v134 :: v_dual_and_b32 v133, 0x80000000, v135
	s_delay_alu instid0(VALU_DEP_2) | instskip(NEXT) | instid1(VALU_DEP_2)
	v_lshl_add_u32 v81, v81, 23, 0x37800000
	v_lshlrev_b32_e32 v82, 21, v82
	s_delay_alu instid0(VALU_DEP_1)
	v_or3_b32 v82, v133, v81, v82
.LBB0_595:                              ;   in Loop: Header=BB0_530 Depth=2
	s_or_b32 exec_lo, exec_lo, s19
	s_delay_alu instid0(VALU_DEP_1) | instskip(NEXT) | instid1(VALU_DEP_1)
	v_dual_max_f32 v81, v82, v82 :: v_dual_max_f32 v82, v132, v132
	v_min_f32_e32 v132, v82, v81
.LBB0_596:                              ;   in Loop: Header=BB0_530 Depth=2
	s_or_b32 exec_lo, exec_lo, s8
	s_delay_alu instid0(VALU_DEP_1) | instskip(NEXT) | instid1(VALU_DEP_1)
	v_and_b32_e32 v81, 0x7f800000, v132
	v_cmp_ne_u32_e32 vcc_lo, 0x7f800000, v81
	v_mov_b32_e32 v81, 0x80
	s_and_saveexec_b32 s9, vcc_lo
	s_cbranch_execz .LBB0_604
; %bb.597:                              ;   in Loop: Header=BB0_530 Depth=2
	v_mov_b32_e32 v81, 0
	s_mov_b32 s19, exec_lo
	v_cmpx_ne_u32_e32 0, v132
	s_cbranch_execz .LBB0_603
; %bb.598:                              ;   in Loop: Header=BB0_530 Depth=2
	v_bfe_u32 v81, v132, 23, 8
	s_delay_alu instid0(VALU_DEP_1) | instskip(SKIP_1) | instid1(VALU_DEP_2)
	v_sub_nc_u32_e32 v133, 0x70, v81
	v_cmp_gt_u32_e32 vcc_lo, 0x71, v81
	v_dual_cndmask_b32 v133, 0, v133 :: v_dual_and_b32 v82, 0x7fffff, v132
	s_delay_alu instid0(VALU_DEP_1) | instskip(SKIP_2) | instid1(VALU_DEP_4)
	v_or_b32_e32 v134, 0x800000, v82
	v_cmp_eq_u32_e32 vcc_lo, 0, v81
	v_add_nc_u32_e32 v81, 0xffffff91, v81
	v_cndmask_b32_e64 v133, v133, 0x6f, vcc_lo
	s_delay_alu instid0(VALU_DEP_4) | instskip(NEXT) | instid1(VALU_DEP_3)
	v_cndmask_b32_e32 v82, v134, v82, vcc_lo
	v_cndmask_b32_e64 v81, v81, 0xffffff92, vcc_lo
	s_delay_alu instid0(VALU_DEP_3) | instskip(NEXT) | instid1(VALU_DEP_3)
	v_lshl_add_u32 v134, 0x200000, v133, -1
	v_lshrrev_b32_e32 v135, v133, v82
	v_lshlrev_b32_e64 v145, v133, 0x100000
	s_delay_alu instid0(VALU_DEP_4) | instskip(NEXT) | instid1(VALU_DEP_4)
	v_add_nc_u32_e32 v133, v133, v81
	v_and_b32_e32 v82, v134, v82
	s_delay_alu instid0(VALU_DEP_4) | instskip(NEXT) | instid1(VALU_DEP_2)
	v_bfe_u32 v144, v135, 21, 1
	v_cmp_eq_u32_e64 s8, v82, v145
	s_delay_alu instid0(VALU_DEP_2) | instskip(NEXT) | instid1(VALU_DEP_1)
	v_add_nc_u32_e32 v134, -1, v144
	v_cndmask_b32_e64 v82, 0, v134, s8
	v_lshrrev_b32_e32 v134, 23, v135
	s_mov_b32 s8, exec_lo
	s_delay_alu instid0(VALU_DEP_2) | instskip(NEXT) | instid1(VALU_DEP_2)
	v_add_nc_u32_e32 v82, v82, v135
	v_xor_b32_e32 v134, 1, v134
	s_delay_alu instid0(VALU_DEP_2) | instskip(NEXT) | instid1(VALU_DEP_1)
	v_and_b32_e32 v81, 0x1fffff, v82
	v_add_nc_u32_e32 v82, v81, v135
                                        ; implicit-def: $vgpr81
	s_delay_alu instid0(VALU_DEP_3)
	v_cmpx_ne_u32_e64 v133, v134
	s_xor_b32 s8, exec_lo, s8
; %bb.599:                              ;   in Loop: Header=BB0_530 Depth=2
	s_delay_alu instid0(VALU_DEP_2) | instskip(SKIP_2) | instid1(VALU_DEP_2)
	v_cmp_lt_u32_e32 vcc_lo, 0xffffff, v82
	v_sub_nc_u32_e32 v81, v133, v134
	v_cndmask_b32_e64 v133, 0, 1, vcc_lo
	v_add_co_ci_u32_e32 v81, vcc_lo, 0, v81, vcc_lo
	s_delay_alu instid0(VALU_DEP_2)
	v_lshrrev_b32_e32 v82, v133, v82
; %bb.600:                              ;   in Loop: Header=BB0_530 Depth=2
	s_and_not1_saveexec_b32 s8, s8
; %bb.601:                              ;   in Loop: Header=BB0_530 Depth=2
	s_delay_alu instid0(VALU_DEP_1)
	v_bfe_u32 v81, v82, 23, 1
; %bb.602:                              ;   in Loop: Header=BB0_530 Depth=2
	s_or_b32 exec_lo, exec_lo, s8
	v_lshrrev_b32_e32 v82, 21, v82
	s_delay_alu instid0(VALU_DEP_2) | instskip(SKIP_2) | instid1(VALU_DEP_2)
	v_cmp_gt_i32_e32 vcc_lo, 32, v81
	v_min_i32_e32 v133, 31, v81
	v_lshrrev_b32_e32 v132, 24, v132
	v_dual_cndmask_b32 v82, 3, v82 :: v_dual_lshlrev_b32 v133, 2, v133
	s_delay_alu instid0(VALU_DEP_1) | instskip(SKIP_1) | instid1(VALU_DEP_2)
	v_or_b32_e32 v81, v81, v82
	v_and_b32_e32 v134, 3, v82
	v_cmp_ne_u32_e32 vcc_lo, 0, v81
	v_and_b32_e32 v132, 0x80, v132
	s_delay_alu instid0(VALU_DEP_1) | instskip(NEXT) | instid1(VALU_DEP_1)
	v_or3_b32 v82, v133, v132, v134
	v_cndmask_b32_e32 v81, 0, v82, vcc_lo
.LBB0_603:                              ;   in Loop: Header=BB0_530 Depth=2
	s_or_b32 exec_lo, exec_lo, s19
.LBB0_604:                              ;   in Loop: Header=BB0_530 Depth=2
	s_delay_alu instid0(SALU_CYCLE_1) | instskip(SKIP_3) | instid1(SALU_CYCLE_1)
	s_or_b32 exec_lo, exec_lo, s9
	v_lshrrev_b32_e32 v132, 16, v17
	v_lshrrev_b32_e32 v82, 16, v97
                                        ; implicit-def: $vgpr133
	s_and_saveexec_b32 s8, s6
	s_xor_b32 s8, exec_lo, s8
	s_cbranch_execz .LBB0_614
; %bb.605:                              ;   in Loop: Header=BB0_530 Depth=2
	v_and_b32_e32 v134, 0xff, v132
	s_mov_b32 s9, 0
	s_mov_b32 s20, exec_lo
                                        ; implicit-def: $sgpr19
	s_delay_alu instid0(VALU_DEP_1)
	v_cmpx_lt_i16_e64 0x7f, v134
	s_xor_b32 s20, exec_lo, s20
	s_cbranch_execnz .LBB0_822
; %bb.606:                              ;   in Loop: Header=BB0_530 Depth=2
	s_or_saveexec_b32 s20, s20
	v_mov_b32_e32 v133, s19
	s_xor_b32 exec_lo, exec_lo, s20
	s_cbranch_execnz .LBB0_825
.LBB0_607:                              ;   in Loop: Header=BB0_530 Depth=2
	s_or_b32 exec_lo, exec_lo, s20
	s_and_saveexec_b32 s19, s9
	s_cbranch_execz .LBB0_609
.LBB0_608:                              ;   in Loop: Header=BB0_530 Depth=2
	v_bfe_u32 v133, v17, 16, 2
	v_bfe_u32 v144, v17, 18, 5
	s_delay_alu instid0(VALU_DEP_2) | instskip(NEXT) | instid1(VALU_DEP_2)
	v_clz_i32_u32_e32 v134, v133
	v_cmp_eq_u32_e32 vcc_lo, 0, v144
	s_delay_alu instid0(VALU_DEP_2) | instskip(NEXT) | instid1(VALU_DEP_1)
	v_min_u32_e32 v134, 32, v134
	v_subrev_nc_u32_e32 v135, 29, v134
	v_sub_nc_u32_e32 v134, 30, v134
	s_delay_alu instid0(VALU_DEP_1) | instskip(NEXT) | instid1(VALU_DEP_1)
	v_dual_cndmask_b32 v134, v144, v134 :: v_dual_lshlrev_b32 v135, v135, v132
	v_and_b32_e32 v135, 3, v135
	v_lshlrev_b32_e32 v132, 24, v132
	s_delay_alu instid0(VALU_DEP_3) | instskip(NEXT) | instid1(VALU_DEP_2)
	v_lshl_add_u32 v134, v134, 23, 0x37800000
	v_dual_cndmask_b32 v133, v133, v135 :: v_dual_and_b32 v132, 0x80000000, v132
	s_delay_alu instid0(VALU_DEP_1) | instskip(NEXT) | instid1(VALU_DEP_1)
	v_lshlrev_b32_e32 v133, 21, v133
	v_or3_b32 v133, v132, v134, v133
.LBB0_609:                              ;   in Loop: Header=BB0_530 Depth=2
	s_or_b32 exec_lo, exec_lo, s19
	v_and_b32_e32 v134, 0xff, v82
	s_mov_b32 s9, 0
	s_mov_b32 s20, exec_lo
                                        ; implicit-def: $sgpr19
	s_delay_alu instid0(VALU_DEP_1)
	v_cmpx_lt_i16_e64 0x7f, v134
	s_xor_b32 s20, exec_lo, s20
	s_cbranch_execnz .LBB0_826
; %bb.610:                              ;   in Loop: Header=BB0_530 Depth=2
	s_or_saveexec_b32 s20, s20
	v_mov_b32_e32 v132, s19
	s_xor_b32 exec_lo, exec_lo, s20
	s_cbranch_execnz .LBB0_829
.LBB0_611:                              ;   in Loop: Header=BB0_530 Depth=2
	s_or_b32 exec_lo, exec_lo, s20
	s_and_saveexec_b32 s19, s9
	s_cbranch_execz .LBB0_613
.LBB0_612:                              ;   in Loop: Header=BB0_530 Depth=2
	v_bfe_u32 v132, v97, 16, 2
	v_bfe_u32 v144, v97, 18, 5
	s_delay_alu instid0(VALU_DEP_2) | instskip(NEXT) | instid1(VALU_DEP_2)
	v_clz_i32_u32_e32 v134, v132
	v_cmp_eq_u32_e32 vcc_lo, 0, v144
	s_delay_alu instid0(VALU_DEP_2) | instskip(NEXT) | instid1(VALU_DEP_1)
	v_min_u32_e32 v134, 32, v134
	v_subrev_nc_u32_e32 v135, 29, v134
	v_sub_nc_u32_e32 v134, 30, v134
	s_delay_alu instid0(VALU_DEP_2) | instskip(SKIP_1) | instid1(VALU_DEP_2)
	v_lshlrev_b32_e32 v135, v135, v82
	v_lshlrev_b32_e32 v82, 24, v82
	v_dual_cndmask_b32 v134, v144, v134 :: v_dual_and_b32 v135, 3, v135
	s_delay_alu instid0(VALU_DEP_2) | instskip(NEXT) | instid1(VALU_DEP_2)
	v_and_b32_e32 v82, 0x80000000, v82
	v_lshl_add_u32 v134, v134, 23, 0x37800000
	s_delay_alu instid0(VALU_DEP_3) | instskip(NEXT) | instid1(VALU_DEP_1)
	v_cndmask_b32_e32 v132, v132, v135, vcc_lo
	v_lshlrev_b32_e32 v132, 21, v132
	s_delay_alu instid0(VALU_DEP_1)
	v_or3_b32 v132, v82, v134, v132
.LBB0_613:                              ;   in Loop: Header=BB0_530 Depth=2
	s_or_b32 exec_lo, exec_lo, s19
	s_delay_alu instid0(VALU_DEP_1) | instskip(SKIP_1) | instid1(VALU_DEP_1)
	v_max_f32_e32 v82, v132, v132
	v_max_f32_e32 v132, v133, v133
	;; [unrolled: 1-line block ×3, first 2 shown]
                                        ; implicit-def: $vgpr82
                                        ; implicit-def: $vgpr132
.LBB0_614:                              ;   in Loop: Header=BB0_530 Depth=2
	s_and_not1_saveexec_b32 s8, s8
	s_cbranch_execz .LBB0_624
; %bb.615:                              ;   in Loop: Header=BB0_530 Depth=2
	v_and_b32_e32 v134, 0xff, v132
	s_mov_b32 s9, 0
	s_mov_b32 s20, exec_lo
                                        ; implicit-def: $sgpr19
	s_delay_alu instid0(VALU_DEP_1)
	v_cmpx_lt_i16_e64 0x7f, v134
	s_xor_b32 s20, exec_lo, s20
	s_cbranch_execnz .LBB0_830
; %bb.616:                              ;   in Loop: Header=BB0_530 Depth=2
	s_or_saveexec_b32 s20, s20
	v_mov_b32_e32 v133, s19
	s_xor_b32 exec_lo, exec_lo, s20
	s_cbranch_execnz .LBB0_833
.LBB0_617:                              ;   in Loop: Header=BB0_530 Depth=2
	s_or_b32 exec_lo, exec_lo, s20
	s_and_saveexec_b32 s19, s9
	s_cbranch_execz .LBB0_619
.LBB0_618:                              ;   in Loop: Header=BB0_530 Depth=2
	v_bfe_u32 v133, v17, 16, 2
	v_bfe_u32 v144, v17, 18, 5
	s_delay_alu instid0(VALU_DEP_2) | instskip(NEXT) | instid1(VALU_DEP_2)
	v_clz_i32_u32_e32 v134, v133
	v_cmp_eq_u32_e32 vcc_lo, 0, v144
	s_delay_alu instid0(VALU_DEP_2) | instskip(NEXT) | instid1(VALU_DEP_1)
	v_min_u32_e32 v134, 32, v134
	v_subrev_nc_u32_e32 v135, 29, v134
	v_sub_nc_u32_e32 v134, 30, v134
	s_delay_alu instid0(VALU_DEP_1) | instskip(NEXT) | instid1(VALU_DEP_1)
	v_dual_cndmask_b32 v134, v144, v134 :: v_dual_lshlrev_b32 v135, v135, v132
	v_and_b32_e32 v135, 3, v135
	v_lshlrev_b32_e32 v132, 24, v132
	s_delay_alu instid0(VALU_DEP_3) | instskip(NEXT) | instid1(VALU_DEP_2)
	v_lshl_add_u32 v134, v134, 23, 0x37800000
	v_dual_cndmask_b32 v133, v133, v135 :: v_dual_and_b32 v132, 0x80000000, v132
	s_delay_alu instid0(VALU_DEP_1) | instskip(NEXT) | instid1(VALU_DEP_1)
	v_lshlrev_b32_e32 v133, 21, v133
	v_or3_b32 v133, v132, v134, v133
.LBB0_619:                              ;   in Loop: Header=BB0_530 Depth=2
	s_or_b32 exec_lo, exec_lo, s19
	v_and_b32_e32 v134, 0xff, v82
	s_mov_b32 s9, 0
	s_mov_b32 s20, exec_lo
                                        ; implicit-def: $sgpr19
	s_delay_alu instid0(VALU_DEP_1)
	v_cmpx_lt_i16_e64 0x7f, v134
	s_xor_b32 s20, exec_lo, s20
	s_cbranch_execnz .LBB0_834
; %bb.620:                              ;   in Loop: Header=BB0_530 Depth=2
	s_or_saveexec_b32 s20, s20
	v_mov_b32_e32 v132, s19
	s_xor_b32 exec_lo, exec_lo, s20
	s_cbranch_execnz .LBB0_837
.LBB0_621:                              ;   in Loop: Header=BB0_530 Depth=2
	s_or_b32 exec_lo, exec_lo, s20
	s_and_saveexec_b32 s19, s9
	s_cbranch_execz .LBB0_623
.LBB0_622:                              ;   in Loop: Header=BB0_530 Depth=2
	v_bfe_u32 v132, v97, 16, 2
	v_bfe_u32 v144, v97, 18, 5
	s_delay_alu instid0(VALU_DEP_2) | instskip(NEXT) | instid1(VALU_DEP_2)
	v_clz_i32_u32_e32 v134, v132
	v_cmp_eq_u32_e32 vcc_lo, 0, v144
	s_delay_alu instid0(VALU_DEP_2) | instskip(NEXT) | instid1(VALU_DEP_1)
	v_min_u32_e32 v134, 32, v134
	v_subrev_nc_u32_e32 v135, 29, v134
	v_sub_nc_u32_e32 v134, 30, v134
	s_delay_alu instid0(VALU_DEP_2) | instskip(SKIP_1) | instid1(VALU_DEP_2)
	v_lshlrev_b32_e32 v135, v135, v82
	v_lshlrev_b32_e32 v82, 24, v82
	v_dual_cndmask_b32 v134, v144, v134 :: v_dual_and_b32 v135, 3, v135
	s_delay_alu instid0(VALU_DEP_2) | instskip(NEXT) | instid1(VALU_DEP_2)
	v_and_b32_e32 v82, 0x80000000, v82
	v_lshl_add_u32 v134, v134, 23, 0x37800000
	s_delay_alu instid0(VALU_DEP_3) | instskip(NEXT) | instid1(VALU_DEP_1)
	v_cndmask_b32_e32 v132, v132, v135, vcc_lo
	v_lshlrev_b32_e32 v132, 21, v132
	s_delay_alu instid0(VALU_DEP_1)
	v_or3_b32 v132, v82, v134, v132
.LBB0_623:                              ;   in Loop: Header=BB0_530 Depth=2
	s_or_b32 exec_lo, exec_lo, s19
	s_delay_alu instid0(VALU_DEP_1) | instskip(SKIP_1) | instid1(VALU_DEP_1)
	v_max_f32_e32 v82, v132, v132
	v_max_f32_e32 v132, v133, v133
	v_min_f32_e32 v133, v132, v82
.LBB0_624:                              ;   in Loop: Header=BB0_530 Depth=2
	s_or_b32 exec_lo, exec_lo, s8
	s_delay_alu instid0(VALU_DEP_1) | instskip(NEXT) | instid1(VALU_DEP_1)
	v_and_b32_e32 v82, 0x7f800000, v133
	v_cmp_ne_u32_e32 vcc_lo, 0x7f800000, v82
	v_mov_b32_e32 v82, 0x80
	s_and_saveexec_b32 s9, vcc_lo
	s_cbranch_execz .LBB0_632
; %bb.625:                              ;   in Loop: Header=BB0_530 Depth=2
	v_mov_b32_e32 v82, 0
	s_mov_b32 s19, exec_lo
	v_cmpx_ne_u32_e32 0, v133
	s_cbranch_execz .LBB0_631
; %bb.626:                              ;   in Loop: Header=BB0_530 Depth=2
	v_bfe_u32 v82, v133, 23, 8
	v_and_b32_e32 v132, 0x7fffff, v133
	s_delay_alu instid0(VALU_DEP_2) | instskip(SKIP_1) | instid1(VALU_DEP_3)
	v_sub_nc_u32_e32 v134, 0x70, v82
	v_cmp_gt_u32_e32 vcc_lo, 0x71, v82
	v_or_b32_e32 v135, 0x800000, v132
	s_delay_alu instid0(VALU_DEP_3) | instskip(SKIP_2) | instid1(VALU_DEP_3)
	v_cndmask_b32_e32 v134, 0, v134, vcc_lo
	v_cmp_eq_u32_e32 vcc_lo, 0, v82
	v_add_nc_u32_e32 v82, 0xffffff91, v82
	v_cndmask_b32_e64 v134, v134, 0x6f, vcc_lo
	v_cndmask_b32_e32 v132, v135, v132, vcc_lo
	s_delay_alu instid0(VALU_DEP_3) | instskip(NEXT) | instid1(VALU_DEP_3)
	v_cndmask_b32_e64 v82, v82, 0xffffff92, vcc_lo
	v_lshl_add_u32 v135, 0x200000, v134, -1
	s_delay_alu instid0(VALU_DEP_3) | instskip(SKIP_1) | instid1(VALU_DEP_4)
	v_lshrrev_b32_e32 v144, v134, v132
	v_lshlrev_b32_e64 v146, v134, 0x100000
	v_add_nc_u32_e32 v134, v134, v82
	s_delay_alu instid0(VALU_DEP_4) | instskip(NEXT) | instid1(VALU_DEP_4)
	v_and_b32_e32 v132, v135, v132
	v_bfe_u32 v145, v144, 21, 1
	s_delay_alu instid0(VALU_DEP_2) | instskip(NEXT) | instid1(VALU_DEP_2)
	v_cmp_eq_u32_e64 s8, v132, v146
	v_add_nc_u32_e32 v135, -1, v145
	s_delay_alu instid0(VALU_DEP_1) | instskip(SKIP_2) | instid1(VALU_DEP_2)
	v_cndmask_b32_e64 v132, 0, v135, s8
	v_lshrrev_b32_e32 v135, 23, v144
	s_mov_b32 s8, exec_lo
	v_add_nc_u32_e32 v132, v132, v144
	s_delay_alu instid0(VALU_DEP_2) | instskip(NEXT) | instid1(VALU_DEP_2)
	v_xor_b32_e32 v135, 1, v135
	v_and_b32_e32 v82, 0x1fffff, v132
	s_delay_alu instid0(VALU_DEP_1) | instskip(NEXT) | instid1(VALU_DEP_3)
	v_add_nc_u32_e32 v132, v82, v144
                                        ; implicit-def: $vgpr82
	v_cmpx_ne_u32_e64 v134, v135
	s_xor_b32 s8, exec_lo, s8
; %bb.627:                              ;   in Loop: Header=BB0_530 Depth=2
	s_delay_alu instid0(VALU_DEP_2) | instskip(SKIP_2) | instid1(VALU_DEP_2)
	v_cmp_lt_u32_e32 vcc_lo, 0xffffff, v132
	v_sub_nc_u32_e32 v82, v134, v135
	v_cndmask_b32_e64 v134, 0, 1, vcc_lo
	v_add_co_ci_u32_e32 v82, vcc_lo, 0, v82, vcc_lo
	s_delay_alu instid0(VALU_DEP_2)
	v_lshrrev_b32_e32 v132, v134, v132
; %bb.628:                              ;   in Loop: Header=BB0_530 Depth=2
	s_and_not1_saveexec_b32 s8, s8
; %bb.629:                              ;   in Loop: Header=BB0_530 Depth=2
	s_delay_alu instid0(VALU_DEP_1)
	v_bfe_u32 v82, v132, 23, 1
; %bb.630:                              ;   in Loop: Header=BB0_530 Depth=2
	s_or_b32 exec_lo, exec_lo, s8
	v_lshrrev_b32_e32 v132, 21, v132
	s_delay_alu instid0(VALU_DEP_2) | instskip(SKIP_2) | instid1(VALU_DEP_2)
	v_cmp_gt_i32_e32 vcc_lo, 32, v82
	v_lshrrev_b32_e32 v133, 24, v133
	v_min_i32_e32 v134, 31, v82
	v_dual_cndmask_b32 v132, 3, v132 :: v_dual_and_b32 v133, 0x80, v133
	s_delay_alu instid0(VALU_DEP_2) | instskip(NEXT) | instid1(VALU_DEP_2)
	v_lshlrev_b32_e32 v134, 2, v134
	v_and_b32_e32 v135, 3, v132
	v_or_b32_e32 v82, v82, v132
	s_delay_alu instid0(VALU_DEP_2) | instskip(NEXT) | instid1(VALU_DEP_2)
	v_or3_b32 v132, v134, v133, v135
	v_cmp_ne_u32_e32 vcc_lo, 0, v82
	s_delay_alu instid0(VALU_DEP_2)
	v_cndmask_b32_e32 v82, 0, v132, vcc_lo
.LBB0_631:                              ;   in Loop: Header=BB0_530 Depth=2
	s_or_b32 exec_lo, exec_lo, s19
.LBB0_632:                              ;   in Loop: Header=BB0_530 Depth=2
	s_delay_alu instid0(SALU_CYCLE_1) | instskip(SKIP_3) | instid1(SALU_CYCLE_1)
	s_or_b32 exec_lo, exec_lo, s9
	v_lshrrev_b32_e32 v133, 24, v17
	v_lshrrev_b32_e32 v132, 24, v97
                                        ; implicit-def: $vgpr134
	s_and_saveexec_b32 s8, s6
	s_xor_b32 s8, exec_lo, s8
	s_cbranch_execz .LBB0_642
; %bb.633:                              ;   in Loop: Header=BB0_530 Depth=2
	s_mov_b32 s9, 0
	s_mov_b32 s20, exec_lo
                                        ; implicit-def: $sgpr19
	v_cmpx_lt_i16_e64 0x7f, v133
	s_xor_b32 s20, exec_lo, s20
	s_cbranch_execnz .LBB0_838
; %bb.634:                              ;   in Loop: Header=BB0_530 Depth=2
	s_or_saveexec_b32 s20, s20
	v_mov_b32_e32 v134, s19
	s_xor_b32 exec_lo, exec_lo, s20
	s_cbranch_execnz .LBB0_841
.LBB0_635:                              ;   in Loop: Header=BB0_530 Depth=2
	s_or_b32 exec_lo, exec_lo, s20
	s_and_saveexec_b32 s19, s9
	s_cbranch_execz .LBB0_637
.LBB0_636:                              ;   in Loop: Header=BB0_530 Depth=2
	v_bfe_u32 v134, v17, 24, 2
	s_delay_alu instid0(VALU_DEP_1) | instskip(NEXT) | instid1(VALU_DEP_1)
	v_clz_i32_u32_e32 v135, v134
	v_min_u32_e32 v135, 32, v135
	s_delay_alu instid0(VALU_DEP_1) | instskip(SKIP_1) | instid1(VALU_DEP_2)
	v_subrev_nc_u32_e32 v144, 29, v135
	v_sub_nc_u32_e32 v135, 30, v135
	v_lshlrev_b32_e32 v133, v144, v133
	v_bfe_u32 v144, v17, 26, 5
	v_and_b32_e32 v17, 0x80000000, v17
	s_delay_alu instid0(VALU_DEP_3) | instskip(NEXT) | instid1(VALU_DEP_3)
	v_and_b32_e32 v133, 3, v133
	v_cmp_eq_u32_e32 vcc_lo, 0, v144
	v_cndmask_b32_e32 v135, v144, v135, vcc_lo
	s_delay_alu instid0(VALU_DEP_3) | instskip(NEXT) | instid1(VALU_DEP_2)
	v_cndmask_b32_e32 v133, v134, v133, vcc_lo
	v_lshl_add_u32 v134, v135, 23, 0x37800000
	s_delay_alu instid0(VALU_DEP_2) | instskip(NEXT) | instid1(VALU_DEP_1)
	v_lshlrev_b32_e32 v133, 21, v133
	v_or3_b32 v134, v17, v134, v133
.LBB0_637:                              ;   in Loop: Header=BB0_530 Depth=2
	s_or_b32 exec_lo, exec_lo, s19
	s_mov_b32 s9, 0
	s_mov_b32 s20, exec_lo
                                        ; implicit-def: $sgpr19
	v_cmpx_lt_i16_e64 0x7f, v132
	s_xor_b32 s20, exec_lo, s20
	s_cbranch_execnz .LBB0_842
; %bb.638:                              ;   in Loop: Header=BB0_530 Depth=2
	s_or_saveexec_b32 s20, s20
	v_mov_b32_e32 v17, s19
	s_xor_b32 exec_lo, exec_lo, s20
	s_cbranch_execnz .LBB0_845
.LBB0_639:                              ;   in Loop: Header=BB0_530 Depth=2
	s_or_b32 exec_lo, exec_lo, s20
	s_and_saveexec_b32 s19, s9
	s_cbranch_execz .LBB0_641
.LBB0_640:                              ;   in Loop: Header=BB0_530 Depth=2
	v_bfe_u32 v17, v97, 24, 2
	s_delay_alu instid0(VALU_DEP_1) | instskip(NEXT) | instid1(VALU_DEP_1)
	v_clz_i32_u32_e32 v133, v17
	v_min_u32_e32 v133, 32, v133
	s_delay_alu instid0(VALU_DEP_1) | instskip(SKIP_1) | instid1(VALU_DEP_2)
	v_subrev_nc_u32_e32 v135, 29, v133
	v_sub_nc_u32_e32 v133, 30, v133
	v_lshlrev_b32_e32 v132, v135, v132
	v_bfe_u32 v135, v97, 26, 5
	v_and_b32_e32 v97, 0x80000000, v97
	s_delay_alu instid0(VALU_DEP_2) | instskip(NEXT) | instid1(VALU_DEP_4)
	v_cmp_eq_u32_e32 vcc_lo, 0, v135
	v_dual_cndmask_b32 v133, v135, v133 :: v_dual_and_b32 v132, 3, v132
	s_delay_alu instid0(VALU_DEP_1) | instskip(NEXT) | instid1(VALU_DEP_2)
	v_cndmask_b32_e32 v17, v17, v132, vcc_lo
	v_lshl_add_u32 v132, v133, 23, 0x37800000
	s_delay_alu instid0(VALU_DEP_2) | instskip(NEXT) | instid1(VALU_DEP_1)
	v_lshlrev_b32_e32 v17, 21, v17
	v_or3_b32 v17, v97, v132, v17
.LBB0_641:                              ;   in Loop: Header=BB0_530 Depth=2
	s_or_b32 exec_lo, exec_lo, s19
	s_delay_alu instid0(VALU_DEP_1) | instskip(SKIP_1) | instid1(VALU_DEP_1)
	v_max_f32_e32 v17, v17, v17
	v_max_f32_e32 v97, v134, v134
                                        ; implicit-def: $vgpr132
                                        ; implicit-def: $vgpr133
	v_max_f32_e32 v134, v97, v17
                                        ; implicit-def: $vgpr97
.LBB0_642:                              ;   in Loop: Header=BB0_530 Depth=2
	s_and_not1_saveexec_b32 s8, s8
	s_cbranch_execz .LBB0_652
; %bb.643:                              ;   in Loop: Header=BB0_530 Depth=2
	s_mov_b32 s9, 0
	s_mov_b32 s20, exec_lo
                                        ; implicit-def: $sgpr19
	v_cmpx_lt_i16_e64 0x7f, v133
	s_xor_b32 s20, exec_lo, s20
	s_cbranch_execnz .LBB0_846
; %bb.644:                              ;   in Loop: Header=BB0_530 Depth=2
	s_or_saveexec_b32 s20, s20
	v_mov_b32_e32 v134, s19
	s_xor_b32 exec_lo, exec_lo, s20
	s_cbranch_execnz .LBB0_849
.LBB0_645:                              ;   in Loop: Header=BB0_530 Depth=2
	s_or_b32 exec_lo, exec_lo, s20
	s_and_saveexec_b32 s19, s9
	s_cbranch_execz .LBB0_647
.LBB0_646:                              ;   in Loop: Header=BB0_530 Depth=2
	v_bfe_u32 v134, v17, 24, 2
	s_delay_alu instid0(VALU_DEP_1) | instskip(NEXT) | instid1(VALU_DEP_1)
	v_clz_i32_u32_e32 v135, v134
	v_min_u32_e32 v135, 32, v135
	s_delay_alu instid0(VALU_DEP_1) | instskip(SKIP_1) | instid1(VALU_DEP_2)
	v_subrev_nc_u32_e32 v144, 29, v135
	v_sub_nc_u32_e32 v135, 30, v135
	v_lshlrev_b32_e32 v133, v144, v133
	v_bfe_u32 v144, v17, 26, 5
	v_and_b32_e32 v17, 0x80000000, v17
	s_delay_alu instid0(VALU_DEP_3) | instskip(NEXT) | instid1(VALU_DEP_3)
	v_and_b32_e32 v133, 3, v133
	v_cmp_eq_u32_e32 vcc_lo, 0, v144
	v_cndmask_b32_e32 v135, v144, v135, vcc_lo
	s_delay_alu instid0(VALU_DEP_3) | instskip(NEXT) | instid1(VALU_DEP_2)
	v_cndmask_b32_e32 v133, v134, v133, vcc_lo
	v_lshl_add_u32 v134, v135, 23, 0x37800000
	s_delay_alu instid0(VALU_DEP_2) | instskip(NEXT) | instid1(VALU_DEP_1)
	v_lshlrev_b32_e32 v133, 21, v133
	v_or3_b32 v134, v17, v134, v133
.LBB0_647:                              ;   in Loop: Header=BB0_530 Depth=2
	s_or_b32 exec_lo, exec_lo, s19
	s_mov_b32 s9, 0
	s_mov_b32 s20, exec_lo
                                        ; implicit-def: $sgpr19
	v_cmpx_lt_i16_e64 0x7f, v132
	s_xor_b32 s20, exec_lo, s20
	s_cbranch_execnz .LBB0_850
; %bb.648:                              ;   in Loop: Header=BB0_530 Depth=2
	s_or_saveexec_b32 s20, s20
	v_mov_b32_e32 v17, s19
	s_xor_b32 exec_lo, exec_lo, s20
	s_cbranch_execnz .LBB0_853
.LBB0_649:                              ;   in Loop: Header=BB0_530 Depth=2
	s_or_b32 exec_lo, exec_lo, s20
	s_and_saveexec_b32 s19, s9
	s_cbranch_execz .LBB0_651
.LBB0_650:                              ;   in Loop: Header=BB0_530 Depth=2
	v_bfe_u32 v17, v97, 24, 2
	s_delay_alu instid0(VALU_DEP_1) | instskip(NEXT) | instid1(VALU_DEP_1)
	v_clz_i32_u32_e32 v133, v17
	v_min_u32_e32 v133, 32, v133
	s_delay_alu instid0(VALU_DEP_1) | instskip(SKIP_1) | instid1(VALU_DEP_2)
	v_subrev_nc_u32_e32 v135, 29, v133
	v_sub_nc_u32_e32 v133, 30, v133
	v_lshlrev_b32_e32 v132, v135, v132
	v_bfe_u32 v135, v97, 26, 5
	v_and_b32_e32 v97, 0x80000000, v97
	s_delay_alu instid0(VALU_DEP_2) | instskip(NEXT) | instid1(VALU_DEP_4)
	v_cmp_eq_u32_e32 vcc_lo, 0, v135
	v_dual_cndmask_b32 v133, v135, v133 :: v_dual_and_b32 v132, 3, v132
	s_delay_alu instid0(VALU_DEP_1) | instskip(NEXT) | instid1(VALU_DEP_2)
	v_cndmask_b32_e32 v17, v17, v132, vcc_lo
	v_lshl_add_u32 v132, v133, 23, 0x37800000
	s_delay_alu instid0(VALU_DEP_2) | instskip(NEXT) | instid1(VALU_DEP_1)
	v_lshlrev_b32_e32 v17, 21, v17
	v_or3_b32 v17, v97, v132, v17
.LBB0_651:                              ;   in Loop: Header=BB0_530 Depth=2
	s_or_b32 exec_lo, exec_lo, s19
	s_delay_alu instid0(VALU_DEP_1) | instskip(SKIP_1) | instid1(VALU_DEP_1)
	v_max_f32_e32 v17, v17, v17
	v_max_f32_e32 v97, v134, v134
	v_min_f32_e32 v134, v97, v17
.LBB0_652:                              ;   in Loop: Header=BB0_530 Depth=2
	s_or_b32 exec_lo, exec_lo, s8
	s_delay_alu instid0(VALU_DEP_1) | instskip(SKIP_2) | instid1(VALU_DEP_2)
	v_and_b32_e32 v17, 0x7f800000, v134
	v_mov_b32_e32 v97, 0x80
	s_mov_b32 s9, exec_lo
	v_cmpx_ne_u32_e32 0x7f800000, v17
	s_cbranch_execz .LBB0_660
; %bb.653:                              ;   in Loop: Header=BB0_530 Depth=2
	v_mov_b32_e32 v97, 0
	s_mov_b32 s19, exec_lo
	v_cmpx_ne_u32_e32 0, v134
	s_cbranch_execz .LBB0_659
; %bb.654:                              ;   in Loop: Header=BB0_530 Depth=2
	v_bfe_u32 v17, v134, 23, 8
	s_delay_alu instid0(VALU_DEP_1) | instskip(SKIP_1) | instid1(VALU_DEP_2)
	v_sub_nc_u32_e32 v132, 0x70, v17
	v_cmp_gt_u32_e32 vcc_lo, 0x71, v17
	v_dual_cndmask_b32 v132, 0, v132 :: v_dual_and_b32 v97, 0x7fffff, v134
	s_delay_alu instid0(VALU_DEP_1) | instskip(SKIP_2) | instid1(VALU_DEP_4)
	v_or_b32_e32 v133, 0x800000, v97
	v_cmp_eq_u32_e32 vcc_lo, 0, v17
	v_add_nc_u32_e32 v17, 0xffffff91, v17
	v_cndmask_b32_e64 v132, v132, 0x6f, vcc_lo
	s_delay_alu instid0(VALU_DEP_4) | instskip(NEXT) | instid1(VALU_DEP_3)
	v_cndmask_b32_e32 v97, v133, v97, vcc_lo
	v_cndmask_b32_e64 v17, v17, 0xffffff92, vcc_lo
	s_delay_alu instid0(VALU_DEP_3) | instskip(NEXT) | instid1(VALU_DEP_3)
	v_lshl_add_u32 v133, 0x200000, v132, -1
	v_lshrrev_b32_e32 v135, v132, v97
	v_lshlrev_b32_e64 v145, v132, 0x100000
	s_delay_alu instid0(VALU_DEP_4) | instskip(NEXT) | instid1(VALU_DEP_4)
	v_add_nc_u32_e32 v132, v132, v17
	v_and_b32_e32 v97, v133, v97
	s_delay_alu instid0(VALU_DEP_4) | instskip(NEXT) | instid1(VALU_DEP_2)
	v_bfe_u32 v144, v135, 21, 1
	v_cmp_eq_u32_e64 s8, v97, v145
	s_delay_alu instid0(VALU_DEP_2) | instskip(NEXT) | instid1(VALU_DEP_1)
	v_add_nc_u32_e32 v133, -1, v144
	v_cndmask_b32_e64 v97, 0, v133, s8
	v_lshrrev_b32_e32 v133, 23, v135
	s_mov_b32 s8, exec_lo
	s_delay_alu instid0(VALU_DEP_2) | instskip(NEXT) | instid1(VALU_DEP_2)
	v_add_nc_u32_e32 v97, v97, v135
	v_xor_b32_e32 v133, 1, v133
	s_delay_alu instid0(VALU_DEP_2) | instskip(NEXT) | instid1(VALU_DEP_1)
	v_and_b32_e32 v17, 0x1fffff, v97
	v_add_nc_u32_e32 v97, v17, v135
                                        ; implicit-def: $vgpr17
	s_delay_alu instid0(VALU_DEP_3)
	v_cmpx_ne_u32_e64 v132, v133
	s_xor_b32 s8, exec_lo, s8
; %bb.655:                              ;   in Loop: Header=BB0_530 Depth=2
	s_delay_alu instid0(VALU_DEP_2) | instskip(SKIP_2) | instid1(VALU_DEP_2)
	v_cmp_lt_u32_e32 vcc_lo, 0xffffff, v97
	v_sub_nc_u32_e32 v17, v132, v133
	v_cndmask_b32_e64 v132, 0, 1, vcc_lo
	v_add_co_ci_u32_e32 v17, vcc_lo, 0, v17, vcc_lo
	s_delay_alu instid0(VALU_DEP_2)
	v_lshrrev_b32_e32 v97, v132, v97
; %bb.656:                              ;   in Loop: Header=BB0_530 Depth=2
	s_and_not1_saveexec_b32 s8, s8
; %bb.657:                              ;   in Loop: Header=BB0_530 Depth=2
	s_delay_alu instid0(VALU_DEP_1)
	v_bfe_u32 v17, v97, 23, 1
; %bb.658:                              ;   in Loop: Header=BB0_530 Depth=2
	s_or_b32 exec_lo, exec_lo, s8
	v_lshrrev_b32_e32 v97, 21, v97
	s_delay_alu instid0(VALU_DEP_2) | instskip(SKIP_2) | instid1(VALU_DEP_2)
	v_cmp_gt_i32_e32 vcc_lo, 32, v17
	v_lshrrev_b32_e32 v132, 24, v134
	v_min_i32_e32 v133, 31, v17
	v_dual_cndmask_b32 v97, 3, v97 :: v_dual_and_b32 v132, 0x80, v132
	s_delay_alu instid0(VALU_DEP_2) | instskip(NEXT) | instid1(VALU_DEP_2)
	v_lshlrev_b32_e32 v133, 2, v133
	v_and_b32_e32 v134, 3, v97
	v_or_b32_e32 v17, v17, v97
	s_delay_alu instid0(VALU_DEP_2) | instskip(NEXT) | instid1(VALU_DEP_2)
	v_or3_b32 v97, v133, v132, v134
	v_cmp_ne_u32_e32 vcc_lo, 0, v17
	s_delay_alu instid0(VALU_DEP_2)
	v_cndmask_b32_e32 v97, 0, v97, vcc_lo
.LBB0_659:                              ;   in Loop: Header=BB0_530 Depth=2
	s_or_b32 exec_lo, exec_lo, s19
.LBB0_660:                              ;   in Loop: Header=BB0_530 Depth=2
	s_delay_alu instid0(SALU_CYCLE_1) | instskip(SKIP_2) | instid1(SALU_CYCLE_1)
	s_or_b32 exec_lo, exec_lo, s9
	v_alignbit_b32 v87, v87, v96, v18
                                        ; implicit-def: $vgpr18
	s_and_saveexec_b32 s8, s6
	s_xor_b32 s8, exec_lo, s8
	s_cbranch_execz .LBB0_670
; %bb.661:                              ;   in Loop: Header=BB0_530 Depth=2
	v_and_b32_e32 v18, 0xff, v19
	s_mov_b32 s9, 0
	s_mov_b32 s20, exec_lo
                                        ; implicit-def: $sgpr19
	s_delay_alu instid0(VALU_DEP_1)
	v_cmpx_lt_i16_e32 0x7f, v18
	s_xor_b32 s20, exec_lo, s20
	s_cbranch_execnz .LBB0_854
; %bb.662:                              ;   in Loop: Header=BB0_530 Depth=2
	s_or_saveexec_b32 s20, s20
	v_mov_b32_e32 v17, s19
	s_xor_b32 exec_lo, exec_lo, s20
	s_cbranch_execnz .LBB0_857
.LBB0_663:                              ;   in Loop: Header=BB0_530 Depth=2
	s_or_b32 exec_lo, exec_lo, s20
	s_and_saveexec_b32 s19, s9
	s_cbranch_execz .LBB0_665
.LBB0_664:                              ;   in Loop: Header=BB0_530 Depth=2
	v_bfe_u32 v132, v19, 2, 5
	v_lshlrev_b32_e32 v133, 24, v19
	s_delay_alu instid0(VALU_DEP_2) | instskip(SKIP_1) | instid1(VALU_DEP_1)
	v_cmp_eq_u32_e32 vcc_lo, 0, v132
	v_and_b32_e32 v17, 3, v19
	v_clz_i32_u32_e32 v18, v17
	s_delay_alu instid0(VALU_DEP_1) | instskip(NEXT) | instid1(VALU_DEP_1)
	v_min_u32_e32 v18, 32, v18
	v_subrev_nc_u32_e32 v96, 29, v18
	v_sub_nc_u32_e32 v18, 30, v18
	s_delay_alu instid0(VALU_DEP_2) | instskip(NEXT) | instid1(VALU_DEP_2)
	v_lshlrev_b32_e32 v96, v96, v19
	v_cndmask_b32_e32 v18, v132, v18, vcc_lo
	s_delay_alu instid0(VALU_DEP_2) | instskip(NEXT) | instid1(VALU_DEP_2)
	v_and_b32_e32 v96, 3, v96
	v_lshl_add_u32 v18, v18, 23, 0x37800000
	s_delay_alu instid0(VALU_DEP_2) | instskip(NEXT) | instid1(VALU_DEP_1)
	v_dual_cndmask_b32 v17, v17, v96 :: v_dual_and_b32 v96, 0x80000000, v133
	v_lshlrev_b32_e32 v17, 21, v17
	s_delay_alu instid0(VALU_DEP_1)
	v_or3_b32 v17, v96, v18, v17
.LBB0_665:                              ;   in Loop: Header=BB0_530 Depth=2
	s_or_b32 exec_lo, exec_lo, s19
	v_and_b32_e32 v96, 0xff, v87
	s_mov_b32 s9, 0
	s_mov_b32 s20, exec_lo
                                        ; implicit-def: $sgpr19
	s_delay_alu instid0(VALU_DEP_1)
	v_cmpx_lt_i16_e32 0x7f, v96
	s_xor_b32 s20, exec_lo, s20
	s_cbranch_execnz .LBB0_858
; %bb.666:                              ;   in Loop: Header=BB0_530 Depth=2
	s_or_saveexec_b32 s20, s20
	v_mov_b32_e32 v18, s19
	s_xor_b32 exec_lo, exec_lo, s20
	s_cbranch_execnz .LBB0_861
.LBB0_667:                              ;   in Loop: Header=BB0_530 Depth=2
	s_or_b32 exec_lo, exec_lo, s20
	s_and_saveexec_b32 s19, s9
	s_cbranch_execz .LBB0_669
.LBB0_668:                              ;   in Loop: Header=BB0_530 Depth=2
	v_and_b32_e32 v18, 3, v87
	v_bfe_u32 v133, v87, 2, 5
	v_lshlrev_b32_e32 v134, 24, v87
	s_delay_alu instid0(VALU_DEP_3) | instskip(NEXT) | instid1(VALU_DEP_3)
	v_clz_i32_u32_e32 v96, v18
	v_cmp_eq_u32_e32 vcc_lo, 0, v133
	s_delay_alu instid0(VALU_DEP_2) | instskip(NEXT) | instid1(VALU_DEP_1)
	v_min_u32_e32 v96, 32, v96
	v_subrev_nc_u32_e32 v132, 29, v96
	v_sub_nc_u32_e32 v96, 30, v96
	s_delay_alu instid0(VALU_DEP_2) | instskip(NEXT) | instid1(VALU_DEP_2)
	v_lshlrev_b32_e32 v132, v132, v87
	v_cndmask_b32_e32 v96, v133, v96, vcc_lo
	s_delay_alu instid0(VALU_DEP_2) | instskip(NEXT) | instid1(VALU_DEP_2)
	v_and_b32_e32 v132, 3, v132
	v_lshl_add_u32 v96, v96, 23, 0x37800000
	s_delay_alu instid0(VALU_DEP_2) | instskip(SKIP_1) | instid1(VALU_DEP_2)
	v_cndmask_b32_e32 v18, v18, v132, vcc_lo
	v_and_b32_e32 v132, 0x80000000, v134
	v_lshlrev_b32_e32 v18, 21, v18
	s_delay_alu instid0(VALU_DEP_1)
	v_or3_b32 v18, v132, v96, v18
.LBB0_669:                              ;   in Loop: Header=BB0_530 Depth=2
	s_or_b32 exec_lo, exec_lo, s19
	s_delay_alu instid0(VALU_DEP_1) | instskip(NEXT) | instid1(VALU_DEP_1)
	v_dual_max_f32 v18, v18, v18 :: v_dual_max_f32 v17, v17, v17
	v_max_f32_e32 v18, v17, v18
.LBB0_670:                              ;   in Loop: Header=BB0_530 Depth=2
	s_and_not1_saveexec_b32 s8, s8
	s_cbranch_execz .LBB0_680
; %bb.671:                              ;   in Loop: Header=BB0_530 Depth=2
	v_and_b32_e32 v18, 0xff, v19
	s_mov_b32 s9, 0
	s_mov_b32 s20, exec_lo
                                        ; implicit-def: $sgpr19
	s_delay_alu instid0(VALU_DEP_1)
	v_cmpx_lt_i16_e32 0x7f, v18
	s_xor_b32 s20, exec_lo, s20
	s_cbranch_execnz .LBB0_862
; %bb.672:                              ;   in Loop: Header=BB0_530 Depth=2
	s_or_saveexec_b32 s20, s20
	v_mov_b32_e32 v17, s19
	s_xor_b32 exec_lo, exec_lo, s20
	s_cbranch_execnz .LBB0_865
.LBB0_673:                              ;   in Loop: Header=BB0_530 Depth=2
	s_or_b32 exec_lo, exec_lo, s20
	s_and_saveexec_b32 s19, s9
	s_cbranch_execz .LBB0_675
.LBB0_674:                              ;   in Loop: Header=BB0_530 Depth=2
	v_bfe_u32 v132, v19, 2, 5
	v_lshlrev_b32_e32 v133, 24, v19
	s_delay_alu instid0(VALU_DEP_2) | instskip(SKIP_1) | instid1(VALU_DEP_1)
	v_cmp_eq_u32_e32 vcc_lo, 0, v132
	v_and_b32_e32 v17, 3, v19
	v_clz_i32_u32_e32 v18, v17
	s_delay_alu instid0(VALU_DEP_1) | instskip(NEXT) | instid1(VALU_DEP_1)
	v_min_u32_e32 v18, 32, v18
	v_subrev_nc_u32_e32 v96, 29, v18
	v_sub_nc_u32_e32 v18, 30, v18
	s_delay_alu instid0(VALU_DEP_2) | instskip(NEXT) | instid1(VALU_DEP_2)
	v_lshlrev_b32_e32 v96, v96, v19
	v_cndmask_b32_e32 v18, v132, v18, vcc_lo
	s_delay_alu instid0(VALU_DEP_2) | instskip(NEXT) | instid1(VALU_DEP_2)
	v_and_b32_e32 v96, 3, v96
	v_lshl_add_u32 v18, v18, 23, 0x37800000
	s_delay_alu instid0(VALU_DEP_2) | instskip(NEXT) | instid1(VALU_DEP_1)
	v_dual_cndmask_b32 v17, v17, v96 :: v_dual_and_b32 v96, 0x80000000, v133
	v_lshlrev_b32_e32 v17, 21, v17
	s_delay_alu instid0(VALU_DEP_1)
	v_or3_b32 v17, v96, v18, v17
.LBB0_675:                              ;   in Loop: Header=BB0_530 Depth=2
	s_or_b32 exec_lo, exec_lo, s19
	v_and_b32_e32 v96, 0xff, v87
	s_mov_b32 s9, 0
	s_mov_b32 s20, exec_lo
                                        ; implicit-def: $sgpr19
	s_delay_alu instid0(VALU_DEP_1)
	v_cmpx_lt_i16_e32 0x7f, v96
	s_xor_b32 s20, exec_lo, s20
	s_cbranch_execnz .LBB0_866
; %bb.676:                              ;   in Loop: Header=BB0_530 Depth=2
	s_or_saveexec_b32 s20, s20
	v_mov_b32_e32 v18, s19
	s_xor_b32 exec_lo, exec_lo, s20
	s_cbranch_execnz .LBB0_869
.LBB0_677:                              ;   in Loop: Header=BB0_530 Depth=2
	s_or_b32 exec_lo, exec_lo, s20
	s_and_saveexec_b32 s19, s9
	s_cbranch_execz .LBB0_679
.LBB0_678:                              ;   in Loop: Header=BB0_530 Depth=2
	v_and_b32_e32 v18, 3, v87
	v_bfe_u32 v133, v87, 2, 5
	v_lshlrev_b32_e32 v134, 24, v87
	s_delay_alu instid0(VALU_DEP_3) | instskip(NEXT) | instid1(VALU_DEP_3)
	v_clz_i32_u32_e32 v96, v18
	v_cmp_eq_u32_e32 vcc_lo, 0, v133
	s_delay_alu instid0(VALU_DEP_2) | instskip(NEXT) | instid1(VALU_DEP_1)
	v_min_u32_e32 v96, 32, v96
	v_subrev_nc_u32_e32 v132, 29, v96
	v_sub_nc_u32_e32 v96, 30, v96
	s_delay_alu instid0(VALU_DEP_2) | instskip(NEXT) | instid1(VALU_DEP_2)
	v_lshlrev_b32_e32 v132, v132, v87
	v_cndmask_b32_e32 v96, v133, v96, vcc_lo
	s_delay_alu instid0(VALU_DEP_2) | instskip(NEXT) | instid1(VALU_DEP_2)
	v_and_b32_e32 v132, 3, v132
	v_lshl_add_u32 v96, v96, 23, 0x37800000
	s_delay_alu instid0(VALU_DEP_2) | instskip(SKIP_1) | instid1(VALU_DEP_2)
	v_cndmask_b32_e32 v18, v18, v132, vcc_lo
	v_and_b32_e32 v132, 0x80000000, v134
	v_lshlrev_b32_e32 v18, 21, v18
	s_delay_alu instid0(VALU_DEP_1)
	v_or3_b32 v18, v132, v96, v18
.LBB0_679:                              ;   in Loop: Header=BB0_530 Depth=2
	s_or_b32 exec_lo, exec_lo, s19
	s_delay_alu instid0(VALU_DEP_1) | instskip(NEXT) | instid1(VALU_DEP_1)
	v_dual_max_f32 v18, v18, v18 :: v_dual_max_f32 v17, v17, v17
	v_min_f32_e32 v18, v17, v18
.LBB0_680:                              ;   in Loop: Header=BB0_530 Depth=2
	s_or_b32 exec_lo, exec_lo, s8
	s_delay_alu instid0(VALU_DEP_1) | instskip(NEXT) | instid1(VALU_DEP_1)
	v_dual_mov_b32 v17, v19 :: v_dual_and_b32 v96, 0x7f800000, v18
	v_cmp_ne_u32_e32 vcc_lo, 0x7f800000, v96
	v_mov_b32_e32 v96, 0x80
	s_and_saveexec_b32 s9, vcc_lo
	s_cbranch_execz .LBB0_688
; %bb.681:                              ;   in Loop: Header=BB0_530 Depth=2
	v_mov_b32_e32 v96, 0
	s_mov_b32 s19, exec_lo
	v_cmpx_ne_u32_e32 0, v18
	s_cbranch_execz .LBB0_687
; %bb.682:                              ;   in Loop: Header=BB0_530 Depth=2
	v_bfe_u32 v96, v18, 23, 8
	s_delay_alu instid0(VALU_DEP_1) | instskip(SKIP_1) | instid1(VALU_DEP_2)
	v_sub_nc_u32_e32 v133, 0x70, v96
	v_cmp_gt_u32_e32 vcc_lo, 0x71, v96
	v_dual_cndmask_b32 v133, 0, v133 :: v_dual_and_b32 v132, 0x7fffff, v18
	s_delay_alu instid0(VALU_DEP_1) | instskip(SKIP_2) | instid1(VALU_DEP_4)
	v_or_b32_e32 v134, 0x800000, v132
	v_cmp_eq_u32_e32 vcc_lo, 0, v96
	v_add_nc_u32_e32 v96, 0xffffff91, v96
	v_cndmask_b32_e64 v133, v133, 0x6f, vcc_lo
	s_delay_alu instid0(VALU_DEP_4) | instskip(NEXT) | instid1(VALU_DEP_3)
	v_cndmask_b32_e32 v132, v134, v132, vcc_lo
	v_cndmask_b32_e64 v96, v96, 0xffffff92, vcc_lo
	s_delay_alu instid0(VALU_DEP_3) | instskip(NEXT) | instid1(VALU_DEP_3)
	v_lshl_add_u32 v134, 0x200000, v133, -1
	v_lshrrev_b32_e32 v135, v133, v132
	v_lshlrev_b32_e64 v145, v133, 0x100000
	s_delay_alu instid0(VALU_DEP_4) | instskip(NEXT) | instid1(VALU_DEP_4)
	v_add_nc_u32_e32 v133, v133, v96
	v_and_b32_e32 v132, v134, v132
	s_delay_alu instid0(VALU_DEP_4) | instskip(NEXT) | instid1(VALU_DEP_2)
	v_bfe_u32 v144, v135, 21, 1
	v_cmp_eq_u32_e64 s8, v132, v145
	s_delay_alu instid0(VALU_DEP_2) | instskip(NEXT) | instid1(VALU_DEP_1)
	v_add_nc_u32_e32 v134, -1, v144
	v_cndmask_b32_e64 v132, 0, v134, s8
	v_lshrrev_b32_e32 v134, 23, v135
	s_mov_b32 s8, exec_lo
	s_delay_alu instid0(VALU_DEP_2) | instskip(NEXT) | instid1(VALU_DEP_2)
	v_add_nc_u32_e32 v132, v132, v135
	v_xor_b32_e32 v134, 1, v134
	s_delay_alu instid0(VALU_DEP_2) | instskip(NEXT) | instid1(VALU_DEP_1)
	v_and_b32_e32 v96, 0x1fffff, v132
	v_add_nc_u32_e32 v132, v96, v135
                                        ; implicit-def: $vgpr96
	s_delay_alu instid0(VALU_DEP_3)
	v_cmpx_ne_u32_e64 v133, v134
	s_xor_b32 s8, exec_lo, s8
; %bb.683:                              ;   in Loop: Header=BB0_530 Depth=2
	s_delay_alu instid0(VALU_DEP_2) | instskip(SKIP_2) | instid1(VALU_DEP_2)
	v_cmp_lt_u32_e32 vcc_lo, 0xffffff, v132
	v_sub_nc_u32_e32 v96, v133, v134
	v_cndmask_b32_e64 v133, 0, 1, vcc_lo
	v_add_co_ci_u32_e32 v96, vcc_lo, 0, v96, vcc_lo
	s_delay_alu instid0(VALU_DEP_2)
	v_lshrrev_b32_e32 v132, v133, v132
; %bb.684:                              ;   in Loop: Header=BB0_530 Depth=2
	s_and_not1_saveexec_b32 s8, s8
; %bb.685:                              ;   in Loop: Header=BB0_530 Depth=2
	s_delay_alu instid0(VALU_DEP_1)
	v_bfe_u32 v96, v132, 23, 1
; %bb.686:                              ;   in Loop: Header=BB0_530 Depth=2
	s_or_b32 exec_lo, exec_lo, s8
	v_lshrrev_b32_e32 v132, 21, v132
	s_delay_alu instid0(VALU_DEP_2) | instskip(SKIP_2) | instid1(VALU_DEP_4)
	v_cmp_gt_i32_e32 vcc_lo, 32, v96
	v_lshrrev_b32_e32 v18, 24, v18
	v_min_i32_e32 v133, 31, v96
	v_cndmask_b32_e32 v132, 3, v132, vcc_lo
	s_delay_alu instid0(VALU_DEP_3) | instskip(NEXT) | instid1(VALU_DEP_3)
	v_and_b32_e32 v18, 0x80, v18
	v_lshlrev_b32_e32 v133, 2, v133
	s_delay_alu instid0(VALU_DEP_3) | instskip(SKIP_1) | instid1(VALU_DEP_2)
	v_and_b32_e32 v134, 3, v132
	v_or_b32_e32 v96, v96, v132
	v_or3_b32 v18, v133, v18, v134
	s_delay_alu instid0(VALU_DEP_2) | instskip(NEXT) | instid1(VALU_DEP_2)
	v_cmp_ne_u32_e32 vcc_lo, 0, v96
	v_cndmask_b32_e32 v96, 0, v18, vcc_lo
.LBB0_687:                              ;   in Loop: Header=BB0_530 Depth=2
	s_or_b32 exec_lo, exec_lo, s19
.LBB0_688:                              ;   in Loop: Header=BB0_530 Depth=2
	s_delay_alu instid0(SALU_CYCLE_1) | instskip(SKIP_3) | instid1(SALU_CYCLE_1)
	s_or_b32 exec_lo, exec_lo, s9
	v_lshrrev_b16 v133, 8, v17
	v_lshrrev_b16 v132, 8, v87
                                        ; implicit-def: $vgpr134
	s_and_saveexec_b32 s8, s6
	s_xor_b32 s8, exec_lo, s8
	s_cbranch_execz .LBB0_698
; %bb.689:                              ;   in Loop: Header=BB0_530 Depth=2
	s_mov_b32 s9, 0
	s_mov_b32 s20, exec_lo
                                        ; implicit-def: $sgpr19
	v_cmpx_lt_i16_e64 0x7f, v133
	s_xor_b32 s20, exec_lo, s20
	s_cbranch_execnz .LBB0_870
; %bb.690:                              ;   in Loop: Header=BB0_530 Depth=2
	s_or_saveexec_b32 s20, s20
	v_mov_b32_e32 v18, s19
	s_xor_b32 exec_lo, exec_lo, s20
	s_cbranch_execnz .LBB0_873
.LBB0_691:                              ;   in Loop: Header=BB0_530 Depth=2
	s_or_b32 exec_lo, exec_lo, s20
	s_and_saveexec_b32 s19, s9
	s_cbranch_execz .LBB0_693
.LBB0_692:                              ;   in Loop: Header=BB0_530 Depth=2
	v_and_b32_e32 v18, 0xffff, v133
	v_lshlrev_b32_e32 v17, 16, v17
	s_delay_alu instid0(VALU_DEP_2) | instskip(NEXT) | instid1(VALU_DEP_2)
	v_and_b32_e32 v133, 3, v18
	v_and_b32_e32 v17, 0x80000000, v17
	s_delay_alu instid0(VALU_DEP_2) | instskip(NEXT) | instid1(VALU_DEP_1)
	v_clz_i32_u32_e32 v134, v133
	v_min_u32_e32 v134, 32, v134
	s_delay_alu instid0(VALU_DEP_1) | instskip(SKIP_1) | instid1(VALU_DEP_2)
	v_subrev_nc_u32_e32 v135, 29, v134
	v_sub_nc_u32_e32 v134, 30, v134
	v_lshlrev_b32_e32 v135, v135, v18
	v_bfe_u32 v18, v18, 2, 5
	s_delay_alu instid0(VALU_DEP_1) | instskip(NEXT) | instid1(VALU_DEP_3)
	v_cmp_eq_u32_e32 vcc_lo, 0, v18
	v_dual_cndmask_b32 v18, v18, v134 :: v_dual_and_b32 v135, 3, v135
	s_delay_alu instid0(VALU_DEP_1) | instskip(NEXT) | instid1(VALU_DEP_2)
	v_cndmask_b32_e32 v133, v133, v135, vcc_lo
	v_lshl_add_u32 v18, v18, 23, 0x37800000
	s_delay_alu instid0(VALU_DEP_2) | instskip(NEXT) | instid1(VALU_DEP_1)
	v_lshlrev_b32_e32 v133, 21, v133
	v_or3_b32 v18, v17, v18, v133
.LBB0_693:                              ;   in Loop: Header=BB0_530 Depth=2
	s_or_b32 exec_lo, exec_lo, s19
	s_mov_b32 s9, 0
	s_mov_b32 s20, exec_lo
                                        ; implicit-def: $sgpr19
	v_cmpx_lt_i16_e64 0x7f, v132
	s_xor_b32 s20, exec_lo, s20
	s_cbranch_execnz .LBB0_874
; %bb.694:                              ;   in Loop: Header=BB0_530 Depth=2
	s_or_saveexec_b32 s20, s20
	v_mov_b32_e32 v17, s19
	s_xor_b32 exec_lo, exec_lo, s20
	s_cbranch_execnz .LBB0_877
.LBB0_695:                              ;   in Loop: Header=BB0_530 Depth=2
	s_or_b32 exec_lo, exec_lo, s20
	s_and_saveexec_b32 s19, s9
	s_cbranch_execz .LBB0_697
.LBB0_696:                              ;   in Loop: Header=BB0_530 Depth=2
	v_and_b32_e32 v17, 0xffff, v132
	v_lshlrev_b32_e32 v135, 16, v87
	s_delay_alu instid0(VALU_DEP_2) | instskip(NEXT) | instid1(VALU_DEP_1)
	v_and_b32_e32 v132, 3, v17
	v_clz_i32_u32_e32 v133, v132
	s_delay_alu instid0(VALU_DEP_1) | instskip(NEXT) | instid1(VALU_DEP_1)
	v_min_u32_e32 v133, 32, v133
	v_subrev_nc_u32_e32 v134, 29, v133
	v_sub_nc_u32_e32 v133, 30, v133
	s_delay_alu instid0(VALU_DEP_2) | instskip(SKIP_1) | instid1(VALU_DEP_1)
	v_lshlrev_b32_e32 v134, v134, v17
	v_bfe_u32 v17, v17, 2, 5
	v_cmp_eq_u32_e32 vcc_lo, 0, v17
	s_delay_alu instid0(VALU_DEP_3) | instskip(NEXT) | instid1(VALU_DEP_1)
	v_dual_cndmask_b32 v17, v17, v133 :: v_dual_and_b32 v134, 3, v134
	v_dual_cndmask_b32 v132, v132, v134 :: v_dual_and_b32 v133, 0x80000000, v135
	s_delay_alu instid0(VALU_DEP_2) | instskip(NEXT) | instid1(VALU_DEP_2)
	v_lshl_add_u32 v17, v17, 23, 0x37800000
	v_lshlrev_b32_e32 v132, 21, v132
	s_delay_alu instid0(VALU_DEP_1)
	v_or3_b32 v17, v133, v17, v132
.LBB0_697:                              ;   in Loop: Header=BB0_530 Depth=2
	s_or_b32 exec_lo, exec_lo, s19
	s_delay_alu instid0(VALU_DEP_1) | instskip(NEXT) | instid1(VALU_DEP_1)
	v_dual_max_f32 v17, v17, v17 :: v_dual_max_f32 v18, v18, v18
                                        ; implicit-def: $vgpr132
                                        ; implicit-def: $vgpr133
	v_max_f32_e32 v134, v18, v17
                                        ; implicit-def: $vgpr17_vgpr18
.LBB0_698:                              ;   in Loop: Header=BB0_530 Depth=2
	s_and_not1_saveexec_b32 s8, s8
	s_cbranch_execz .LBB0_708
; %bb.699:                              ;   in Loop: Header=BB0_530 Depth=2
	s_mov_b32 s9, 0
	s_mov_b32 s20, exec_lo
                                        ; implicit-def: $sgpr19
	v_cmpx_lt_i16_e64 0x7f, v133
	s_xor_b32 s20, exec_lo, s20
	s_cbranch_execnz .LBB0_878
; %bb.700:                              ;   in Loop: Header=BB0_530 Depth=2
	s_or_saveexec_b32 s20, s20
	v_mov_b32_e32 v18, s19
	s_xor_b32 exec_lo, exec_lo, s20
	s_cbranch_execnz .LBB0_881
.LBB0_701:                              ;   in Loop: Header=BB0_530 Depth=2
	s_or_b32 exec_lo, exec_lo, s20
	s_and_saveexec_b32 s19, s9
	s_cbranch_execz .LBB0_703
.LBB0_702:                              ;   in Loop: Header=BB0_530 Depth=2
	v_and_b32_e32 v18, 0xffff, v133
	v_lshlrev_b32_e32 v17, 16, v17
	s_delay_alu instid0(VALU_DEP_2) | instskip(NEXT) | instid1(VALU_DEP_2)
	v_and_b32_e32 v133, 3, v18
	v_and_b32_e32 v17, 0x80000000, v17
	s_delay_alu instid0(VALU_DEP_2) | instskip(NEXT) | instid1(VALU_DEP_1)
	v_clz_i32_u32_e32 v134, v133
	v_min_u32_e32 v134, 32, v134
	s_delay_alu instid0(VALU_DEP_1) | instskip(SKIP_1) | instid1(VALU_DEP_2)
	v_subrev_nc_u32_e32 v135, 29, v134
	v_sub_nc_u32_e32 v134, 30, v134
	v_lshlrev_b32_e32 v135, v135, v18
	v_bfe_u32 v18, v18, 2, 5
	s_delay_alu instid0(VALU_DEP_1) | instskip(NEXT) | instid1(VALU_DEP_3)
	v_cmp_eq_u32_e32 vcc_lo, 0, v18
	v_dual_cndmask_b32 v18, v18, v134 :: v_dual_and_b32 v135, 3, v135
	s_delay_alu instid0(VALU_DEP_1) | instskip(NEXT) | instid1(VALU_DEP_2)
	v_cndmask_b32_e32 v133, v133, v135, vcc_lo
	v_lshl_add_u32 v18, v18, 23, 0x37800000
	s_delay_alu instid0(VALU_DEP_2) | instskip(NEXT) | instid1(VALU_DEP_1)
	v_lshlrev_b32_e32 v133, 21, v133
	v_or3_b32 v18, v17, v18, v133
.LBB0_703:                              ;   in Loop: Header=BB0_530 Depth=2
	s_or_b32 exec_lo, exec_lo, s19
	s_mov_b32 s9, 0
	s_mov_b32 s20, exec_lo
                                        ; implicit-def: $sgpr19
	v_cmpx_lt_i16_e64 0x7f, v132
	s_xor_b32 s20, exec_lo, s20
	s_cbranch_execnz .LBB0_882
; %bb.704:                              ;   in Loop: Header=BB0_530 Depth=2
	s_or_saveexec_b32 s20, s20
	v_mov_b32_e32 v17, s19
	s_xor_b32 exec_lo, exec_lo, s20
	s_cbranch_execnz .LBB0_885
.LBB0_705:                              ;   in Loop: Header=BB0_530 Depth=2
	s_or_b32 exec_lo, exec_lo, s20
	s_and_saveexec_b32 s19, s9
	s_cbranch_execz .LBB0_707
.LBB0_706:                              ;   in Loop: Header=BB0_530 Depth=2
	v_and_b32_e32 v17, 0xffff, v132
	v_lshlrev_b32_e32 v135, 16, v87
	s_delay_alu instid0(VALU_DEP_2) | instskip(NEXT) | instid1(VALU_DEP_1)
	v_and_b32_e32 v132, 3, v17
	v_clz_i32_u32_e32 v133, v132
	s_delay_alu instid0(VALU_DEP_1) | instskip(NEXT) | instid1(VALU_DEP_1)
	v_min_u32_e32 v133, 32, v133
	v_subrev_nc_u32_e32 v134, 29, v133
	v_sub_nc_u32_e32 v133, 30, v133
	s_delay_alu instid0(VALU_DEP_2) | instskip(SKIP_1) | instid1(VALU_DEP_1)
	v_lshlrev_b32_e32 v134, v134, v17
	v_bfe_u32 v17, v17, 2, 5
	v_cmp_eq_u32_e32 vcc_lo, 0, v17
	s_delay_alu instid0(VALU_DEP_3) | instskip(NEXT) | instid1(VALU_DEP_1)
	v_dual_cndmask_b32 v17, v17, v133 :: v_dual_and_b32 v134, 3, v134
	v_dual_cndmask_b32 v132, v132, v134 :: v_dual_and_b32 v133, 0x80000000, v135
	s_delay_alu instid0(VALU_DEP_2) | instskip(NEXT) | instid1(VALU_DEP_2)
	v_lshl_add_u32 v17, v17, 23, 0x37800000
	v_lshlrev_b32_e32 v132, 21, v132
	s_delay_alu instid0(VALU_DEP_1)
	v_or3_b32 v17, v133, v17, v132
.LBB0_707:                              ;   in Loop: Header=BB0_530 Depth=2
	s_or_b32 exec_lo, exec_lo, s19
	s_delay_alu instid0(VALU_DEP_1) | instskip(NEXT) | instid1(VALU_DEP_1)
	v_dual_max_f32 v17, v17, v17 :: v_dual_max_f32 v18, v18, v18
	v_min_f32_e32 v134, v18, v17
.LBB0_708:                              ;   in Loop: Header=BB0_530 Depth=2
	s_or_b32 exec_lo, exec_lo, s8
	s_delay_alu instid0(VALU_DEP_1) | instskip(NEXT) | instid1(VALU_DEP_1)
	v_and_b32_e32 v17, 0x7f800000, v134
	v_cmp_ne_u32_e32 vcc_lo, 0x7f800000, v17
	v_mov_b32_e32 v17, 0x80
	s_and_saveexec_b32 s9, vcc_lo
	s_cbranch_execz .LBB0_716
; %bb.709:                              ;   in Loop: Header=BB0_530 Depth=2
	v_mov_b32_e32 v17, 0
	s_mov_b32 s19, exec_lo
	v_cmpx_ne_u32_e32 0, v134
	s_cbranch_execz .LBB0_715
; %bb.710:                              ;   in Loop: Header=BB0_530 Depth=2
	v_bfe_u32 v17, v134, 23, 8
	v_and_b32_e32 v18, 0x7fffff, v134
	s_delay_alu instid0(VALU_DEP_2) | instskip(SKIP_1) | instid1(VALU_DEP_3)
	v_sub_nc_u32_e32 v132, 0x70, v17
	v_cmp_gt_u32_e32 vcc_lo, 0x71, v17
	v_or_b32_e32 v133, 0x800000, v18
	s_delay_alu instid0(VALU_DEP_3) | instskip(SKIP_2) | instid1(VALU_DEP_3)
	v_cndmask_b32_e32 v132, 0, v132, vcc_lo
	v_cmp_eq_u32_e32 vcc_lo, 0, v17
	v_add_nc_u32_e32 v17, 0xffffff91, v17
	v_cndmask_b32_e64 v132, v132, 0x6f, vcc_lo
	v_cndmask_b32_e32 v18, v133, v18, vcc_lo
	s_delay_alu instid0(VALU_DEP_3) | instskip(NEXT) | instid1(VALU_DEP_3)
	v_cndmask_b32_e64 v17, v17, 0xffffff92, vcc_lo
	v_lshl_add_u32 v133, 0x200000, v132, -1
	s_delay_alu instid0(VALU_DEP_3) | instskip(SKIP_1) | instid1(VALU_DEP_4)
	v_lshrrev_b32_e32 v135, v132, v18
	v_lshlrev_b32_e64 v145, v132, 0x100000
	v_add_nc_u32_e32 v132, v132, v17
	s_delay_alu instid0(VALU_DEP_4) | instskip(NEXT) | instid1(VALU_DEP_4)
	v_and_b32_e32 v18, v133, v18
	v_bfe_u32 v144, v135, 21, 1
	s_delay_alu instid0(VALU_DEP_2) | instskip(NEXT) | instid1(VALU_DEP_2)
	v_cmp_eq_u32_e64 s8, v18, v145
	v_add_nc_u32_e32 v133, -1, v144
	s_delay_alu instid0(VALU_DEP_1) | instskip(SKIP_2) | instid1(VALU_DEP_2)
	v_cndmask_b32_e64 v18, 0, v133, s8
	v_lshrrev_b32_e32 v133, 23, v135
	s_mov_b32 s8, exec_lo
	v_add_nc_u32_e32 v18, v18, v135
	s_delay_alu instid0(VALU_DEP_2) | instskip(NEXT) | instid1(VALU_DEP_2)
	v_xor_b32_e32 v133, 1, v133
	v_and_b32_e32 v17, 0x1fffff, v18
	s_delay_alu instid0(VALU_DEP_1) | instskip(NEXT) | instid1(VALU_DEP_3)
	v_add_nc_u32_e32 v18, v17, v135
                                        ; implicit-def: $vgpr17
	v_cmpx_ne_u32_e64 v132, v133
	s_xor_b32 s8, exec_lo, s8
; %bb.711:                              ;   in Loop: Header=BB0_530 Depth=2
	s_delay_alu instid0(VALU_DEP_2) | instskip(SKIP_2) | instid1(VALU_DEP_2)
	v_cmp_lt_u32_e32 vcc_lo, 0xffffff, v18
	v_sub_nc_u32_e32 v17, v132, v133
	v_cndmask_b32_e64 v132, 0, 1, vcc_lo
	v_add_co_ci_u32_e32 v17, vcc_lo, 0, v17, vcc_lo
	s_delay_alu instid0(VALU_DEP_2)
	v_lshrrev_b32_e32 v18, v132, v18
; %bb.712:                              ;   in Loop: Header=BB0_530 Depth=2
	s_and_not1_saveexec_b32 s8, s8
; %bb.713:                              ;   in Loop: Header=BB0_530 Depth=2
	s_delay_alu instid0(VALU_DEP_1)
	v_bfe_u32 v17, v18, 23, 1
; %bb.714:                              ;   in Loop: Header=BB0_530 Depth=2
	s_or_b32 exec_lo, exec_lo, s8
	v_lshrrev_b32_e32 v18, 21, v18
	s_delay_alu instid0(VALU_DEP_2) | instskip(SKIP_2) | instid1(VALU_DEP_2)
	v_cmp_gt_i32_e32 vcc_lo, 32, v17
	v_min_i32_e32 v133, 31, v17
	v_lshrrev_b32_e32 v132, 24, v134
	v_dual_cndmask_b32 v18, 3, v18 :: v_dual_lshlrev_b32 v133, 2, v133
	s_delay_alu instid0(VALU_DEP_1) | instskip(SKIP_1) | instid1(VALU_DEP_2)
	v_or_b32_e32 v17, v17, v18
	v_and_b32_e32 v134, 3, v18
	v_cmp_ne_u32_e32 vcc_lo, 0, v17
	v_and_b32_e32 v132, 0x80, v132
	s_delay_alu instid0(VALU_DEP_1) | instskip(NEXT) | instid1(VALU_DEP_1)
	v_or3_b32 v18, v133, v132, v134
	v_cndmask_b32_e32 v17, 0, v18, vcc_lo
.LBB0_715:                              ;   in Loop: Header=BB0_530 Depth=2
	s_or_b32 exec_lo, exec_lo, s19
.LBB0_716:                              ;   in Loop: Header=BB0_530 Depth=2
	s_delay_alu instid0(SALU_CYCLE_1) | instskip(SKIP_3) | instid1(SALU_CYCLE_1)
	s_or_b32 exec_lo, exec_lo, s9
	v_lshrrev_b32_e32 v132, 16, v19
	v_lshrrev_b32_e32 v18, 16, v87
                                        ; implicit-def: $vgpr133
	s_and_saveexec_b32 s8, s6
	s_xor_b32 s8, exec_lo, s8
	s_cbranch_execz .LBB0_726
; %bb.717:                              ;   in Loop: Header=BB0_530 Depth=2
	v_and_b32_e32 v134, 0xff, v132
	s_mov_b32 s9, 0
	s_mov_b32 s20, exec_lo
                                        ; implicit-def: $sgpr19
	s_delay_alu instid0(VALU_DEP_1)
	v_cmpx_lt_i16_e64 0x7f, v134
	s_xor_b32 s20, exec_lo, s20
	s_cbranch_execnz .LBB0_886
; %bb.718:                              ;   in Loop: Header=BB0_530 Depth=2
	s_or_saveexec_b32 s20, s20
	v_mov_b32_e32 v133, s19
	s_xor_b32 exec_lo, exec_lo, s20
	s_cbranch_execnz .LBB0_889
.LBB0_719:                              ;   in Loop: Header=BB0_530 Depth=2
	s_or_b32 exec_lo, exec_lo, s20
	s_and_saveexec_b32 s19, s9
	s_cbranch_execz .LBB0_721
.LBB0_720:                              ;   in Loop: Header=BB0_530 Depth=2
	v_bfe_u32 v133, v19, 16, 2
	v_bfe_u32 v144, v19, 18, 5
	s_delay_alu instid0(VALU_DEP_2) | instskip(NEXT) | instid1(VALU_DEP_2)
	v_clz_i32_u32_e32 v134, v133
	v_cmp_eq_u32_e32 vcc_lo, 0, v144
	s_delay_alu instid0(VALU_DEP_2) | instskip(NEXT) | instid1(VALU_DEP_1)
	v_min_u32_e32 v134, 32, v134
	v_subrev_nc_u32_e32 v135, 29, v134
	v_sub_nc_u32_e32 v134, 30, v134
	s_delay_alu instid0(VALU_DEP_1) | instskip(NEXT) | instid1(VALU_DEP_1)
	v_dual_cndmask_b32 v134, v144, v134 :: v_dual_lshlrev_b32 v135, v135, v132
	v_and_b32_e32 v135, 3, v135
	v_lshlrev_b32_e32 v132, 24, v132
	s_delay_alu instid0(VALU_DEP_3) | instskip(NEXT) | instid1(VALU_DEP_2)
	v_lshl_add_u32 v134, v134, 23, 0x37800000
	v_dual_cndmask_b32 v133, v133, v135 :: v_dual_and_b32 v132, 0x80000000, v132
	s_delay_alu instid0(VALU_DEP_1) | instskip(NEXT) | instid1(VALU_DEP_1)
	v_lshlrev_b32_e32 v133, 21, v133
	v_or3_b32 v133, v132, v134, v133
.LBB0_721:                              ;   in Loop: Header=BB0_530 Depth=2
	s_or_b32 exec_lo, exec_lo, s19
	v_and_b32_e32 v134, 0xff, v18
	s_mov_b32 s9, 0
	s_mov_b32 s20, exec_lo
                                        ; implicit-def: $sgpr19
	s_delay_alu instid0(VALU_DEP_1)
	v_cmpx_lt_i16_e64 0x7f, v134
	s_xor_b32 s20, exec_lo, s20
	s_cbranch_execnz .LBB0_890
; %bb.722:                              ;   in Loop: Header=BB0_530 Depth=2
	s_or_saveexec_b32 s20, s20
	v_mov_b32_e32 v132, s19
	s_xor_b32 exec_lo, exec_lo, s20
	s_cbranch_execnz .LBB0_893
.LBB0_723:                              ;   in Loop: Header=BB0_530 Depth=2
	s_or_b32 exec_lo, exec_lo, s20
	s_and_saveexec_b32 s19, s9
	s_cbranch_execz .LBB0_725
.LBB0_724:                              ;   in Loop: Header=BB0_530 Depth=2
	v_bfe_u32 v132, v87, 16, 2
	v_bfe_u32 v144, v87, 18, 5
	s_delay_alu instid0(VALU_DEP_2) | instskip(NEXT) | instid1(VALU_DEP_2)
	v_clz_i32_u32_e32 v134, v132
	v_cmp_eq_u32_e32 vcc_lo, 0, v144
	s_delay_alu instid0(VALU_DEP_2) | instskip(NEXT) | instid1(VALU_DEP_1)
	v_min_u32_e32 v134, 32, v134
	v_subrev_nc_u32_e32 v135, 29, v134
	v_sub_nc_u32_e32 v134, 30, v134
	s_delay_alu instid0(VALU_DEP_2) | instskip(SKIP_1) | instid1(VALU_DEP_2)
	v_lshlrev_b32_e32 v135, v135, v18
	v_lshlrev_b32_e32 v18, 24, v18
	v_dual_cndmask_b32 v134, v144, v134 :: v_dual_and_b32 v135, 3, v135
	s_delay_alu instid0(VALU_DEP_2) | instskip(NEXT) | instid1(VALU_DEP_2)
	v_and_b32_e32 v18, 0x80000000, v18
	v_lshl_add_u32 v134, v134, 23, 0x37800000
	s_delay_alu instid0(VALU_DEP_3) | instskip(NEXT) | instid1(VALU_DEP_1)
	v_cndmask_b32_e32 v132, v132, v135, vcc_lo
	v_lshlrev_b32_e32 v132, 21, v132
	s_delay_alu instid0(VALU_DEP_1)
	v_or3_b32 v132, v18, v134, v132
.LBB0_725:                              ;   in Loop: Header=BB0_530 Depth=2
	s_or_b32 exec_lo, exec_lo, s19
	s_delay_alu instid0(VALU_DEP_1) | instskip(SKIP_1) | instid1(VALU_DEP_1)
	v_max_f32_e32 v18, v132, v132
	v_max_f32_e32 v132, v133, v133
	;; [unrolled: 1-line block ×3, first 2 shown]
                                        ; implicit-def: $vgpr18
                                        ; implicit-def: $vgpr132
.LBB0_726:                              ;   in Loop: Header=BB0_530 Depth=2
	s_and_not1_saveexec_b32 s8, s8
	s_cbranch_execz .LBB0_736
; %bb.727:                              ;   in Loop: Header=BB0_530 Depth=2
	v_and_b32_e32 v134, 0xff, v132
	s_mov_b32 s9, 0
	s_mov_b32 s20, exec_lo
                                        ; implicit-def: $sgpr19
	s_delay_alu instid0(VALU_DEP_1)
	v_cmpx_lt_i16_e64 0x7f, v134
	s_xor_b32 s20, exec_lo, s20
	s_cbranch_execnz .LBB0_894
; %bb.728:                              ;   in Loop: Header=BB0_530 Depth=2
	s_or_saveexec_b32 s20, s20
	v_mov_b32_e32 v133, s19
	s_xor_b32 exec_lo, exec_lo, s20
	s_cbranch_execnz .LBB0_897
.LBB0_729:                              ;   in Loop: Header=BB0_530 Depth=2
	s_or_b32 exec_lo, exec_lo, s20
	s_and_saveexec_b32 s19, s9
	s_cbranch_execz .LBB0_731
.LBB0_730:                              ;   in Loop: Header=BB0_530 Depth=2
	v_bfe_u32 v133, v19, 16, 2
	v_bfe_u32 v144, v19, 18, 5
	s_delay_alu instid0(VALU_DEP_2) | instskip(NEXT) | instid1(VALU_DEP_2)
	v_clz_i32_u32_e32 v134, v133
	v_cmp_eq_u32_e32 vcc_lo, 0, v144
	s_delay_alu instid0(VALU_DEP_2) | instskip(NEXT) | instid1(VALU_DEP_1)
	v_min_u32_e32 v134, 32, v134
	v_subrev_nc_u32_e32 v135, 29, v134
	v_sub_nc_u32_e32 v134, 30, v134
	s_delay_alu instid0(VALU_DEP_1) | instskip(NEXT) | instid1(VALU_DEP_1)
	v_dual_cndmask_b32 v134, v144, v134 :: v_dual_lshlrev_b32 v135, v135, v132
	v_and_b32_e32 v135, 3, v135
	v_lshlrev_b32_e32 v132, 24, v132
	s_delay_alu instid0(VALU_DEP_3) | instskip(NEXT) | instid1(VALU_DEP_2)
	v_lshl_add_u32 v134, v134, 23, 0x37800000
	v_dual_cndmask_b32 v133, v133, v135 :: v_dual_and_b32 v132, 0x80000000, v132
	s_delay_alu instid0(VALU_DEP_1) | instskip(NEXT) | instid1(VALU_DEP_1)
	v_lshlrev_b32_e32 v133, 21, v133
	v_or3_b32 v133, v132, v134, v133
.LBB0_731:                              ;   in Loop: Header=BB0_530 Depth=2
	s_or_b32 exec_lo, exec_lo, s19
	v_and_b32_e32 v134, 0xff, v18
	s_mov_b32 s9, 0
	s_mov_b32 s20, exec_lo
                                        ; implicit-def: $sgpr19
	s_delay_alu instid0(VALU_DEP_1)
	v_cmpx_lt_i16_e64 0x7f, v134
	s_xor_b32 s20, exec_lo, s20
	s_cbranch_execnz .LBB0_898
; %bb.732:                              ;   in Loop: Header=BB0_530 Depth=2
	s_or_saveexec_b32 s20, s20
	v_mov_b32_e32 v132, s19
	s_xor_b32 exec_lo, exec_lo, s20
	s_cbranch_execnz .LBB0_901
.LBB0_733:                              ;   in Loop: Header=BB0_530 Depth=2
	s_or_b32 exec_lo, exec_lo, s20
	s_and_saveexec_b32 s19, s9
	s_cbranch_execz .LBB0_735
.LBB0_734:                              ;   in Loop: Header=BB0_530 Depth=2
	v_bfe_u32 v132, v87, 16, 2
	v_bfe_u32 v144, v87, 18, 5
	s_delay_alu instid0(VALU_DEP_2) | instskip(NEXT) | instid1(VALU_DEP_2)
	v_clz_i32_u32_e32 v134, v132
	v_cmp_eq_u32_e32 vcc_lo, 0, v144
	s_delay_alu instid0(VALU_DEP_2) | instskip(NEXT) | instid1(VALU_DEP_1)
	v_min_u32_e32 v134, 32, v134
	v_subrev_nc_u32_e32 v135, 29, v134
	v_sub_nc_u32_e32 v134, 30, v134
	s_delay_alu instid0(VALU_DEP_2) | instskip(SKIP_1) | instid1(VALU_DEP_2)
	v_lshlrev_b32_e32 v135, v135, v18
	v_lshlrev_b32_e32 v18, 24, v18
	v_dual_cndmask_b32 v134, v144, v134 :: v_dual_and_b32 v135, 3, v135
	s_delay_alu instid0(VALU_DEP_2) | instskip(NEXT) | instid1(VALU_DEP_2)
	v_and_b32_e32 v18, 0x80000000, v18
	v_lshl_add_u32 v134, v134, 23, 0x37800000
	s_delay_alu instid0(VALU_DEP_3) | instskip(NEXT) | instid1(VALU_DEP_1)
	v_cndmask_b32_e32 v132, v132, v135, vcc_lo
	v_lshlrev_b32_e32 v132, 21, v132
	s_delay_alu instid0(VALU_DEP_1)
	v_or3_b32 v132, v18, v134, v132
.LBB0_735:                              ;   in Loop: Header=BB0_530 Depth=2
	s_or_b32 exec_lo, exec_lo, s19
	s_delay_alu instid0(VALU_DEP_1) | instskip(SKIP_1) | instid1(VALU_DEP_1)
	v_max_f32_e32 v18, v132, v132
	v_max_f32_e32 v132, v133, v133
	v_min_f32_e32 v133, v132, v18
.LBB0_736:                              ;   in Loop: Header=BB0_530 Depth=2
	s_or_b32 exec_lo, exec_lo, s8
	s_delay_alu instid0(VALU_DEP_1) | instskip(SKIP_2) | instid1(VALU_DEP_2)
	v_and_b32_e32 v18, 0x7f800000, v133
	v_mov_b32_e32 v132, 0x80
	s_mov_b32 s9, exec_lo
	v_cmpx_ne_u32_e32 0x7f800000, v18
	s_cbranch_execz .LBB0_744
; %bb.737:                              ;   in Loop: Header=BB0_530 Depth=2
	v_mov_b32_e32 v132, 0
	s_mov_b32 s19, exec_lo
	v_cmpx_ne_u32_e32 0, v133
	s_cbranch_execz .LBB0_743
; %bb.738:                              ;   in Loop: Header=BB0_530 Depth=2
	v_bfe_u32 v18, v133, 23, 8
	v_and_b32_e32 v132, 0x7fffff, v133
	s_delay_alu instid0(VALU_DEP_2) | instskip(SKIP_1) | instid1(VALU_DEP_3)
	v_sub_nc_u32_e32 v134, 0x70, v18
	v_cmp_gt_u32_e32 vcc_lo, 0x71, v18
	v_or_b32_e32 v135, 0x800000, v132
	s_delay_alu instid0(VALU_DEP_3) | instskip(SKIP_2) | instid1(VALU_DEP_3)
	v_cndmask_b32_e32 v134, 0, v134, vcc_lo
	v_cmp_eq_u32_e32 vcc_lo, 0, v18
	v_add_nc_u32_e32 v18, 0xffffff91, v18
	v_cndmask_b32_e64 v134, v134, 0x6f, vcc_lo
	v_cndmask_b32_e32 v132, v135, v132, vcc_lo
	s_delay_alu instid0(VALU_DEP_3) | instskip(NEXT) | instid1(VALU_DEP_3)
	v_cndmask_b32_e64 v18, v18, 0xffffff92, vcc_lo
	v_lshl_add_u32 v135, 0x200000, v134, -1
	s_delay_alu instid0(VALU_DEP_3) | instskip(SKIP_1) | instid1(VALU_DEP_4)
	v_lshrrev_b32_e32 v144, v134, v132
	v_lshlrev_b32_e64 v146, v134, 0x100000
	v_add_nc_u32_e32 v134, v134, v18
	s_delay_alu instid0(VALU_DEP_4) | instskip(NEXT) | instid1(VALU_DEP_4)
	v_and_b32_e32 v132, v135, v132
	v_bfe_u32 v145, v144, 21, 1
	s_delay_alu instid0(VALU_DEP_2) | instskip(NEXT) | instid1(VALU_DEP_2)
	v_cmp_eq_u32_e64 s8, v132, v146
	v_add_nc_u32_e32 v135, -1, v145
	s_delay_alu instid0(VALU_DEP_1) | instskip(SKIP_2) | instid1(VALU_DEP_2)
	v_cndmask_b32_e64 v132, 0, v135, s8
	v_lshrrev_b32_e32 v135, 23, v144
	s_mov_b32 s8, exec_lo
	v_add_nc_u32_e32 v132, v132, v144
	s_delay_alu instid0(VALU_DEP_2) | instskip(NEXT) | instid1(VALU_DEP_2)
	v_xor_b32_e32 v135, 1, v135
	v_and_b32_e32 v18, 0x1fffff, v132
	s_delay_alu instid0(VALU_DEP_1) | instskip(NEXT) | instid1(VALU_DEP_3)
	v_add_nc_u32_e32 v132, v18, v144
                                        ; implicit-def: $vgpr18
	v_cmpx_ne_u32_e64 v134, v135
	s_xor_b32 s8, exec_lo, s8
; %bb.739:                              ;   in Loop: Header=BB0_530 Depth=2
	s_delay_alu instid0(VALU_DEP_2) | instskip(SKIP_2) | instid1(VALU_DEP_2)
	v_cmp_lt_u32_e32 vcc_lo, 0xffffff, v132
	v_sub_nc_u32_e32 v18, v134, v135
	v_cndmask_b32_e64 v134, 0, 1, vcc_lo
	v_add_co_ci_u32_e32 v18, vcc_lo, 0, v18, vcc_lo
	s_delay_alu instid0(VALU_DEP_2)
	v_lshrrev_b32_e32 v132, v134, v132
; %bb.740:                              ;   in Loop: Header=BB0_530 Depth=2
	s_and_not1_saveexec_b32 s8, s8
; %bb.741:                              ;   in Loop: Header=BB0_530 Depth=2
	s_delay_alu instid0(VALU_DEP_1)
	v_bfe_u32 v18, v132, 23, 1
; %bb.742:                              ;   in Loop: Header=BB0_530 Depth=2
	s_or_b32 exec_lo, exec_lo, s8
	v_lshrrev_b32_e32 v132, 21, v132
	s_delay_alu instid0(VALU_DEP_2) | instskip(SKIP_2) | instid1(VALU_DEP_3)
	v_min_i32_e32 v134, 31, v18
	v_cmp_gt_i32_e32 vcc_lo, 32, v18
	v_lshrrev_b32_e32 v133, 24, v133
	v_lshlrev_b32_e32 v134, 2, v134
	s_delay_alu instid0(VALU_DEP_2) | instskip(NEXT) | instid1(VALU_DEP_2)
	v_dual_cndmask_b32 v132, 3, v132 :: v_dual_and_b32 v133, 0x80, v133
	v_and_b32_e32 v134, 0xfc, v134
	s_delay_alu instid0(VALU_DEP_2) | instskip(SKIP_1) | instid1(VALU_DEP_2)
	v_and_b32_e32 v135, 3, v132
	v_or_b32_e32 v18, v18, v132
	v_or3_b32 v132, v134, v133, v135
	s_delay_alu instid0(VALU_DEP_2) | instskip(NEXT) | instid1(VALU_DEP_2)
	v_cmp_ne_u32_e32 vcc_lo, 0, v18
	v_cndmask_b32_e32 v132, 0, v132, vcc_lo
.LBB0_743:                              ;   in Loop: Header=BB0_530 Depth=2
	s_or_b32 exec_lo, exec_lo, s19
.LBB0_744:                              ;   in Loop: Header=BB0_530 Depth=2
	s_delay_alu instid0(SALU_CYCLE_1) | instskip(SKIP_3) | instid1(SALU_CYCLE_1)
	s_or_b32 exec_lo, exec_lo, s9
	v_lshrrev_b32_e32 v18, 24, v19
	v_lshrrev_b32_e32 v133, 24, v87
                                        ; implicit-def: $vgpr134
	s_and_saveexec_b32 s8, s6
	s_xor_b32 s8, exec_lo, s8
	s_cbranch_execz .LBB0_754
; %bb.745:                              ;   in Loop: Header=BB0_530 Depth=2
	s_mov_b32 s9, 0
	s_mov_b32 s20, exec_lo
                                        ; implicit-def: $sgpr19
	v_cmpx_lt_i16_e32 0x7f, v18
	s_xor_b32 s20, exec_lo, s20
	s_cbranch_execnz .LBB0_902
; %bb.746:                              ;   in Loop: Header=BB0_530 Depth=2
	s_or_saveexec_b32 s20, s20
	v_mov_b32_e32 v134, s19
	s_xor_b32 exec_lo, exec_lo, s20
	s_cbranch_execnz .LBB0_905
.LBB0_747:                              ;   in Loop: Header=BB0_530 Depth=2
	s_or_b32 exec_lo, exec_lo, s20
	s_and_saveexec_b32 s19, s9
	s_cbranch_execz .LBB0_749
.LBB0_748:                              ;   in Loop: Header=BB0_530 Depth=2
	v_bfe_u32 v134, v19, 24, 2
	s_delay_alu instid0(VALU_DEP_1) | instskip(NEXT) | instid1(VALU_DEP_1)
	v_clz_i32_u32_e32 v135, v134
	v_min_u32_e32 v135, 32, v135
	s_delay_alu instid0(VALU_DEP_1) | instskip(SKIP_1) | instid1(VALU_DEP_2)
	v_subrev_nc_u32_e32 v144, 29, v135
	v_sub_nc_u32_e32 v135, 30, v135
	v_lshlrev_b32_e32 v18, v144, v18
	v_bfe_u32 v144, v19, 26, 5
	v_and_b32_e32 v19, 0x80000000, v19
	s_delay_alu instid0(VALU_DEP_2) | instskip(NEXT) | instid1(VALU_DEP_4)
	v_cmp_eq_u32_e32 vcc_lo, 0, v144
	v_dual_cndmask_b32 v135, v144, v135 :: v_dual_and_b32 v18, 3, v18
	s_delay_alu instid0(VALU_DEP_1) | instskip(NEXT) | instid1(VALU_DEP_2)
	v_cndmask_b32_e32 v18, v134, v18, vcc_lo
	v_lshl_add_u32 v134, v135, 23, 0x37800000
	s_delay_alu instid0(VALU_DEP_2) | instskip(NEXT) | instid1(VALU_DEP_1)
	v_lshlrev_b32_e32 v18, 21, v18
	v_or3_b32 v134, v19, v134, v18
.LBB0_749:                              ;   in Loop: Header=BB0_530 Depth=2
	s_or_b32 exec_lo, exec_lo, s19
	s_mov_b32 s9, 0
	s_mov_b32 s20, exec_lo
                                        ; implicit-def: $sgpr19
	v_cmpx_lt_i16_e64 0x7f, v133
	s_xor_b32 s20, exec_lo, s20
	s_cbranch_execnz .LBB0_906
; %bb.750:                              ;   in Loop: Header=BB0_530 Depth=2
	s_or_saveexec_b32 s20, s20
	v_mov_b32_e32 v18, s19
	s_xor_b32 exec_lo, exec_lo, s20
	s_cbranch_execnz .LBB0_909
.LBB0_751:                              ;   in Loop: Header=BB0_530 Depth=2
	s_or_b32 exec_lo, exec_lo, s20
	s_and_saveexec_b32 s19, s9
	s_cbranch_execz .LBB0_753
.LBB0_752:                              ;   in Loop: Header=BB0_530 Depth=2
	v_bfe_u32 v18, v87, 24, 2
	s_delay_alu instid0(VALU_DEP_1) | instskip(NEXT) | instid1(VALU_DEP_1)
	v_clz_i32_u32_e32 v19, v18
	v_min_u32_e32 v19, 32, v19
	s_delay_alu instid0(VALU_DEP_1) | instskip(SKIP_1) | instid1(VALU_DEP_2)
	v_subrev_nc_u32_e32 v135, 29, v19
	v_sub_nc_u32_e32 v19, 30, v19
	v_lshlrev_b32_e32 v133, v135, v133
	v_bfe_u32 v135, v87, 26, 5
	v_and_b32_e32 v87, 0x80000000, v87
	s_delay_alu instid0(VALU_DEP_3) | instskip(NEXT) | instid1(VALU_DEP_3)
	v_and_b32_e32 v133, 3, v133
	v_cmp_eq_u32_e32 vcc_lo, 0, v135
	s_delay_alu instid0(VALU_DEP_2) | instskip(NEXT) | instid1(VALU_DEP_1)
	v_dual_cndmask_b32 v19, v135, v19 :: v_dual_cndmask_b32 v18, v18, v133
	v_lshl_add_u32 v19, v19, 23, 0x37800000
	s_delay_alu instid0(VALU_DEP_2) | instskip(NEXT) | instid1(VALU_DEP_1)
	v_lshlrev_b32_e32 v18, 21, v18
	v_or3_b32 v18, v87, v19, v18
.LBB0_753:                              ;   in Loop: Header=BB0_530 Depth=2
	s_or_b32 exec_lo, exec_lo, s19
	s_delay_alu instid0(VALU_DEP_1) | instskip(SKIP_1) | instid1(VALU_DEP_1)
	v_max_f32_e32 v18, v18, v18
	v_max_f32_e32 v19, v134, v134
                                        ; implicit-def: $vgpr87
                                        ; implicit-def: $vgpr133
	v_max_f32_e32 v134, v19, v18
                                        ; implicit-def: $vgpr18_vgpr19
                                        ; implicit-def: $vgpr18
.LBB0_754:                              ;   in Loop: Header=BB0_530 Depth=2
	s_and_not1_saveexec_b32 s8, s8
	s_cbranch_execz .LBB0_764
; %bb.755:                              ;   in Loop: Header=BB0_530 Depth=2
	s_mov_b32 s9, 0
	s_mov_b32 s20, exec_lo
                                        ; implicit-def: $sgpr19
	v_cmpx_lt_i16_e32 0x7f, v18
	s_xor_b32 s20, exec_lo, s20
	s_cbranch_execnz .LBB0_910
; %bb.756:                              ;   in Loop: Header=BB0_530 Depth=2
	s_or_saveexec_b32 s20, s20
	v_mov_b32_e32 v134, s19
	s_xor_b32 exec_lo, exec_lo, s20
	s_cbranch_execnz .LBB0_913
.LBB0_757:                              ;   in Loop: Header=BB0_530 Depth=2
	s_or_b32 exec_lo, exec_lo, s20
	s_and_saveexec_b32 s19, s9
	s_cbranch_execz .LBB0_759
.LBB0_758:                              ;   in Loop: Header=BB0_530 Depth=2
	v_bfe_u32 v134, v19, 24, 2
	s_delay_alu instid0(VALU_DEP_1) | instskip(NEXT) | instid1(VALU_DEP_1)
	v_clz_i32_u32_e32 v135, v134
	v_min_u32_e32 v135, 32, v135
	s_delay_alu instid0(VALU_DEP_1) | instskip(SKIP_1) | instid1(VALU_DEP_2)
	v_subrev_nc_u32_e32 v144, 29, v135
	v_sub_nc_u32_e32 v135, 30, v135
	v_lshlrev_b32_e32 v18, v144, v18
	v_bfe_u32 v144, v19, 26, 5
	v_and_b32_e32 v19, 0x80000000, v19
	s_delay_alu instid0(VALU_DEP_2) | instskip(NEXT) | instid1(VALU_DEP_4)
	v_cmp_eq_u32_e32 vcc_lo, 0, v144
	v_dual_cndmask_b32 v135, v144, v135 :: v_dual_and_b32 v18, 3, v18
	s_delay_alu instid0(VALU_DEP_1) | instskip(NEXT) | instid1(VALU_DEP_2)
	v_cndmask_b32_e32 v18, v134, v18, vcc_lo
	v_lshl_add_u32 v134, v135, 23, 0x37800000
	s_delay_alu instid0(VALU_DEP_2) | instskip(NEXT) | instid1(VALU_DEP_1)
	v_lshlrev_b32_e32 v18, 21, v18
	v_or3_b32 v134, v19, v134, v18
.LBB0_759:                              ;   in Loop: Header=BB0_530 Depth=2
	s_or_b32 exec_lo, exec_lo, s19
	s_mov_b32 s9, 0
	s_mov_b32 s20, exec_lo
                                        ; implicit-def: $sgpr19
	v_cmpx_lt_i16_e64 0x7f, v133
	s_xor_b32 s20, exec_lo, s20
	s_cbranch_execnz .LBB0_914
; %bb.760:                              ;   in Loop: Header=BB0_530 Depth=2
	s_or_saveexec_b32 s20, s20
	v_mov_b32_e32 v18, s19
	s_xor_b32 exec_lo, exec_lo, s20
	s_cbranch_execnz .LBB0_917
.LBB0_761:                              ;   in Loop: Header=BB0_530 Depth=2
	s_or_b32 exec_lo, exec_lo, s20
	s_and_saveexec_b32 s19, s9
	s_cbranch_execz .LBB0_763
.LBB0_762:                              ;   in Loop: Header=BB0_530 Depth=2
	v_bfe_u32 v18, v87, 24, 2
	s_delay_alu instid0(VALU_DEP_1) | instskip(NEXT) | instid1(VALU_DEP_1)
	v_clz_i32_u32_e32 v19, v18
	v_min_u32_e32 v19, 32, v19
	s_delay_alu instid0(VALU_DEP_1) | instskip(SKIP_1) | instid1(VALU_DEP_2)
	v_subrev_nc_u32_e32 v135, 29, v19
	v_sub_nc_u32_e32 v19, 30, v19
	v_lshlrev_b32_e32 v133, v135, v133
	v_bfe_u32 v135, v87, 26, 5
	v_and_b32_e32 v87, 0x80000000, v87
	s_delay_alu instid0(VALU_DEP_3) | instskip(NEXT) | instid1(VALU_DEP_3)
	v_and_b32_e32 v133, 3, v133
	v_cmp_eq_u32_e32 vcc_lo, 0, v135
	s_delay_alu instid0(VALU_DEP_2) | instskip(NEXT) | instid1(VALU_DEP_1)
	v_dual_cndmask_b32 v19, v135, v19 :: v_dual_cndmask_b32 v18, v18, v133
	v_lshl_add_u32 v19, v19, 23, 0x37800000
	s_delay_alu instid0(VALU_DEP_2) | instskip(NEXT) | instid1(VALU_DEP_1)
	v_lshlrev_b32_e32 v18, 21, v18
	v_or3_b32 v18, v87, v19, v18
.LBB0_763:                              ;   in Loop: Header=BB0_530 Depth=2
	s_or_b32 exec_lo, exec_lo, s19
	s_delay_alu instid0(VALU_DEP_1) | instskip(SKIP_1) | instid1(VALU_DEP_1)
	v_max_f32_e32 v18, v18, v18
	v_max_f32_e32 v19, v134, v134
	v_min_f32_e32 v134, v19, v18
.LBB0_764:                              ;   in Loop: Header=BB0_530 Depth=2
	s_or_b32 exec_lo, exec_lo, s8
	s_delay_alu instid0(VALU_DEP_1) | instskip(NEXT) | instid1(VALU_DEP_1)
	v_and_b32_e32 v18, 0x7f800000, v134
	v_cmp_ne_u32_e32 vcc_lo, 0x7f800000, v18
	v_mov_b32_e32 v18, 0x8000
	s_and_saveexec_b32 s9, vcc_lo
	s_cbranch_execz .LBB0_772
; %bb.765:                              ;   in Loop: Header=BB0_530 Depth=2
	v_mov_b32_e32 v18, 0
	s_mov_b32 s19, exec_lo
	v_cmpx_ne_u32_e32 0, v134
	s_cbranch_execz .LBB0_771
; %bb.766:                              ;   in Loop: Header=BB0_530 Depth=2
	v_bfe_u32 v18, v134, 23, 8
	v_and_b32_e32 v19, 0x7fffff, v134
	s_delay_alu instid0(VALU_DEP_2) | instskip(SKIP_1) | instid1(VALU_DEP_3)
	v_sub_nc_u32_e32 v87, 0x70, v18
	v_cmp_gt_u32_e32 vcc_lo, 0x71, v18
	v_or_b32_e32 v133, 0x800000, v19
	s_delay_alu instid0(VALU_DEP_3) | instskip(SKIP_2) | instid1(VALU_DEP_3)
	v_cndmask_b32_e32 v87, 0, v87, vcc_lo
	v_cmp_eq_u32_e32 vcc_lo, 0, v18
	v_add_nc_u32_e32 v18, 0xffffff91, v18
	v_cndmask_b32_e64 v87, v87, 0x6f, vcc_lo
	v_cndmask_b32_e32 v19, v133, v19, vcc_lo
	s_delay_alu instid0(VALU_DEP_3) | instskip(NEXT) | instid1(VALU_DEP_3)
	v_cndmask_b32_e64 v18, v18, 0xffffff92, vcc_lo
	v_lshl_add_u32 v133, 0x200000, v87, -1
	s_delay_alu instid0(VALU_DEP_3) | instskip(SKIP_1) | instid1(VALU_DEP_4)
	v_lshrrev_b32_e32 v135, v87, v19
	v_lshlrev_b32_e64 v145, v87, 0x100000
	v_add_nc_u32_e32 v87, v87, v18
	s_delay_alu instid0(VALU_DEP_4) | instskip(NEXT) | instid1(VALU_DEP_4)
	v_and_b32_e32 v19, v133, v19
	v_bfe_u32 v144, v135, 21, 1
	s_delay_alu instid0(VALU_DEP_2) | instskip(NEXT) | instid1(VALU_DEP_2)
	v_cmp_eq_u32_e64 s8, v19, v145
	v_add_nc_u32_e32 v133, -1, v144
	s_delay_alu instid0(VALU_DEP_1) | instskip(SKIP_2) | instid1(VALU_DEP_2)
	v_cndmask_b32_e64 v19, 0, v133, s8
	v_lshrrev_b32_e32 v133, 23, v135
	s_mov_b32 s8, exec_lo
	v_add_nc_u32_e32 v19, v19, v135
	s_delay_alu instid0(VALU_DEP_2) | instskip(NEXT) | instid1(VALU_DEP_2)
	v_xor_b32_e32 v133, 1, v133
	v_and_b32_e32 v18, 0x1fffff, v19
	s_delay_alu instid0(VALU_DEP_1) | instskip(NEXT) | instid1(VALU_DEP_3)
	v_add_nc_u32_e32 v19, v18, v135
                                        ; implicit-def: $vgpr18
	v_cmpx_ne_u32_e64 v87, v133
	s_xor_b32 s8, exec_lo, s8
; %bb.767:                              ;   in Loop: Header=BB0_530 Depth=2
	s_delay_alu instid0(VALU_DEP_2) | instskip(SKIP_2) | instid1(VALU_DEP_2)
	v_cmp_lt_u32_e32 vcc_lo, 0xffffff, v19
	v_sub_nc_u32_e32 v18, v87, v133
	v_cndmask_b32_e64 v87, 0, 1, vcc_lo
	v_add_co_ci_u32_e32 v18, vcc_lo, 0, v18, vcc_lo
	s_delay_alu instid0(VALU_DEP_2)
	v_lshrrev_b32_e32 v19, v87, v19
; %bb.768:                              ;   in Loop: Header=BB0_530 Depth=2
	s_and_not1_saveexec_b32 s8, s8
; %bb.769:                              ;   in Loop: Header=BB0_530 Depth=2
	s_delay_alu instid0(VALU_DEP_1)
	v_bfe_u32 v18, v19, 23, 1
; %bb.770:                              ;   in Loop: Header=BB0_530 Depth=2
	s_or_b32 exec_lo, exec_lo, s8
	v_lshrrev_b32_e32 v19, 21, v19
	s_delay_alu instid0(VALU_DEP_2) | instskip(SKIP_2) | instid1(VALU_DEP_4)
	v_cmp_gt_i32_e32 vcc_lo, 32, v18
	v_min_i32_e32 v87, 31, v18
	v_lshrrev_b32_e32 v133, 24, v134
	v_cndmask_b32_e32 v19, 3, v19, vcc_lo
	s_delay_alu instid0(VALU_DEP_3) | instskip(NEXT) | instid1(VALU_DEP_2)
	v_lshlrev_b32_e32 v87, 2, v87
	v_or_b32_e32 v18, v18, v19
	v_and_b32_e32 v134, 3, v19
	s_delay_alu instid0(VALU_DEP_3) | instskip(NEXT) | instid1(VALU_DEP_3)
	v_and_b32_e32 v87, 0xfc, v87
	v_cmp_ne_u32_e32 vcc_lo, 0, v18
	v_and_b32_e32 v133, 0x80, v133
	s_delay_alu instid0(VALU_DEP_1) | instskip(NEXT) | instid1(VALU_DEP_1)
	v_or3_b32 v87, v133, v87, v134
	v_lshlrev_b32_e32 v19, 8, v87
	s_delay_alu instid0(VALU_DEP_1)
	v_cndmask_b32_e32 v18, 0, v19, vcc_lo
.LBB0_771:                              ;   in Loop: Header=BB0_530 Depth=2
	s_or_b32 exec_lo, exec_lo, s19
.LBB0_772:                              ;   in Loop: Header=BB0_530 Depth=2
	s_delay_alu instid0(SALU_CYCLE_1) | instskip(SKIP_1) | instid1(VALU_DEP_2)
	s_or_b32 exec_lo, exec_lo, s9
	v_cmp_lt_u32_e32 vcc_lo, 7, v131
	v_or_b32_e32 v18, v18, v132
	v_cndmask_b32_e64 v19, 0, 1, vcc_lo
	;;#ASMSTART
	;;#ASMEND
	s_delay_alu instid0(VALU_DEP_1) | instskip(NEXT) | instid1(VALU_DEP_1)
	v_cmp_ne_u32_e64 s8, 0, v19
	s_cmp_lg_u32 s8, exec_lo
	s_mov_b32 s8, -1
	s_cbranch_scc0 .LBB0_788
; %bb.773:                              ;   in Loop: Header=BB0_530 Depth=2
	s_mov_b32 s9, exec_lo
	flat_store_b8 v[70:71], v20
	v_cmpx_ne_u32_e32 1, v131
	s_cbranch_execz .LBB0_775
; %bb.774:                              ;   in Loop: Header=BB0_530 Depth=2
	flat_store_b8 v[70:71], v81 offset:1
.LBB0_775:                              ;   in Loop: Header=BB0_530 Depth=2
	s_or_b32 exec_lo, exec_lo, s9
	s_delay_alu instid0(SALU_CYCLE_1)
	s_mov_b32 s9, exec_lo
	v_cmpx_lt_u32_e32 2, v131
	s_cbranch_execz .LBB0_777
; %bb.776:                              ;   in Loop: Header=BB0_530 Depth=2
	flat_store_b8 v[70:71], v82 offset:2
.LBB0_777:                              ;   in Loop: Header=BB0_530 Depth=2
	s_or_b32 exec_lo, exec_lo, s9
	s_delay_alu instid0(SALU_CYCLE_1)
	s_mov_b32 s9, exec_lo
	v_cmpx_lt_u32_e32 3, v131
	;; [unrolled: 8-line block ×5, first 2 shown]
	s_cbranch_execz .LBB0_785
; %bb.784:                              ;   in Loop: Header=BB0_530 Depth=2
	flat_store_b8 v[70:71], v18 offset:6
.LBB0_785:                              ;   in Loop: Header=BB0_530 Depth=2
	s_or_b32 exec_lo, exec_lo, s9
	s_and_saveexec_b32 s8, vcc_lo
	s_cbranch_execz .LBB0_787
; %bb.786:                              ;   in Loop: Header=BB0_530 Depth=2
	v_lshrrev_b32_e32 v19, 8, v18
	flat_store_b8 v[70:71], v19 offset:7
.LBB0_787:                              ;   in Loop: Header=BB0_530 Depth=2
	s_or_b32 exec_lo, exec_lo, s8
	s_mov_b32 s8, 0
.LBB0_788:                              ;   in Loop: Header=BB0_530 Depth=2
	s_delay_alu instid0(SALU_CYCLE_1)
	s_and_b32 vcc_lo, exec_lo, s8
	s_cbranch_vccz .LBB0_529
; %bb.789:                              ;   in Loop: Header=BB0_530 Depth=2
	v_perm_b32 v19, v97, v82, 0x6050400
	v_lshlrev_b32_e32 v17, 8, v17
	v_lshlrev_b32_e32 v81, 8, v81
	s_delay_alu instid0(VALU_DEP_3) | instskip(NEXT) | instid1(VALU_DEP_3)
	v_perm_b32 v19, v19, v20, 0x5040c00
	v_perm_b32 v20, v17, v96, 0xc0c0500
	s_delay_alu instid0(VALU_DEP_2) | instskip(NEXT) | instid1(VALU_DEP_2)
	v_and_or_b32 v17, 0xff00, v81, v19
	v_lshl_or_b32 v18, v18, 16, v20
	global_store_b64 v[70:71], v[17:18], off
	s_branch .LBB0_529
.LBB0_790:                              ;   in Loop: Header=BB0_530 Depth=2
	s_mov_b32 s9, -1
	s_mov_b32 s21, exec_lo
                                        ; implicit-def: $sgpr19
	v_cmpx_eq_u16_e32 0x80, v81
; %bb.791:                              ;   in Loop: Header=BB0_530 Depth=2
	s_mov_b32 s19, 0x7f800001
	s_xor_b32 s9, exec_lo, -1
; %bb.792:                              ;   in Loop: Header=BB0_530 Depth=2
	s_or_b32 exec_lo, exec_lo, s21
	s_delay_alu instid0(SALU_CYCLE_1)
	s_and_b32 s9, s9, exec_lo
                                        ; implicit-def: $vgpr81
	s_or_saveexec_b32 s20, s20
	v_mov_b32_e32 v20, s19
	s_xor_b32 exec_lo, exec_lo, s20
	s_cbranch_execz .LBB0_551
.LBB0_793:                              ;   in Loop: Header=BB0_530 Depth=2
	v_cmp_ne_u16_e32 vcc_lo, 0, v81
	v_mov_b32_e32 v20, 0
	s_and_not1_b32 s9, s9, exec_lo
	s_and_b32 s19, vcc_lo, exec_lo
	s_delay_alu instid0(SALU_CYCLE_1)
	s_or_b32 s9, s9, s19
	s_or_b32 exec_lo, exec_lo, s20
	s_and_saveexec_b32 s19, s9
	s_cbranch_execnz .LBB0_552
	s_branch .LBB0_553
.LBB0_794:                              ;   in Loop: Header=BB0_530 Depth=2
	s_mov_b32 s9, -1
	s_mov_b32 s21, exec_lo
                                        ; implicit-def: $sgpr19
	v_cmpx_eq_u16_e32 0x80, v82
; %bb.795:                              ;   in Loop: Header=BB0_530 Depth=2
	s_mov_b32 s19, 0x7f800001
	s_xor_b32 s9, exec_lo, -1
; %bb.796:                              ;   in Loop: Header=BB0_530 Depth=2
	s_or_b32 exec_lo, exec_lo, s21
	s_delay_alu instid0(SALU_CYCLE_1)
	s_and_b32 s9, s9, exec_lo
                                        ; implicit-def: $vgpr82
	s_or_saveexec_b32 s20, s20
	v_mov_b32_e32 v81, s19
	s_xor_b32 exec_lo, exec_lo, s20
	s_cbranch_execz .LBB0_555
.LBB0_797:                              ;   in Loop: Header=BB0_530 Depth=2
	v_cmp_ne_u16_e32 vcc_lo, 0, v82
	v_mov_b32_e32 v81, 0
	s_and_not1_b32 s9, s9, exec_lo
	s_and_b32 s19, vcc_lo, exec_lo
	s_delay_alu instid0(SALU_CYCLE_1)
	s_or_b32 s9, s9, s19
	s_or_b32 exec_lo, exec_lo, s20
	s_and_saveexec_b32 s19, s9
	s_cbranch_execnz .LBB0_556
	s_branch .LBB0_557
.LBB0_798:                              ;   in Loop: Header=BB0_530 Depth=2
	s_mov_b32 s9, -1
	s_mov_b32 s21, exec_lo
                                        ; implicit-def: $sgpr19
	v_cmpx_eq_u16_e32 0x80, v81
; %bb.799:                              ;   in Loop: Header=BB0_530 Depth=2
	s_mov_b32 s19, 0x7f800001
	s_xor_b32 s9, exec_lo, -1
; %bb.800:                              ;   in Loop: Header=BB0_530 Depth=2
	s_or_b32 exec_lo, exec_lo, s21
	s_delay_alu instid0(SALU_CYCLE_1)
	s_and_b32 s9, s9, exec_lo
                                        ; implicit-def: $vgpr81
	s_or_saveexec_b32 s20, s20
	v_mov_b32_e32 v20, s19
	s_xor_b32 exec_lo, exec_lo, s20
	s_cbranch_execz .LBB0_561
.LBB0_801:                              ;   in Loop: Header=BB0_530 Depth=2
	v_cmp_ne_u16_e32 vcc_lo, 0, v81
	v_mov_b32_e32 v20, 0
	s_and_not1_b32 s9, s9, exec_lo
	s_and_b32 s19, vcc_lo, exec_lo
	s_delay_alu instid0(SALU_CYCLE_1)
	s_or_b32 s9, s9, s19
	s_or_b32 exec_lo, exec_lo, s20
	s_and_saveexec_b32 s19, s9
	s_cbranch_execnz .LBB0_562
	s_branch .LBB0_563
.LBB0_802:                              ;   in Loop: Header=BB0_530 Depth=2
	s_mov_b32 s9, -1
	s_mov_b32 s21, exec_lo
                                        ; implicit-def: $sgpr19
	v_cmpx_eq_u16_e32 0x80, v82
; %bb.803:                              ;   in Loop: Header=BB0_530 Depth=2
	s_mov_b32 s19, 0x7f800001
	s_xor_b32 s9, exec_lo, -1
; %bb.804:                              ;   in Loop: Header=BB0_530 Depth=2
	s_or_b32 exec_lo, exec_lo, s21
	s_delay_alu instid0(SALU_CYCLE_1)
	s_and_b32 s9, s9, exec_lo
                                        ; implicit-def: $vgpr82
	s_or_saveexec_b32 s20, s20
	v_mov_b32_e32 v81, s19
	s_xor_b32 exec_lo, exec_lo, s20
	s_cbranch_execz .LBB0_565
.LBB0_805:                              ;   in Loop: Header=BB0_530 Depth=2
	v_cmp_ne_u16_e32 vcc_lo, 0, v82
	v_mov_b32_e32 v81, 0
	s_and_not1_b32 s9, s9, exec_lo
	s_and_b32 s19, vcc_lo, exec_lo
	s_delay_alu instid0(SALU_CYCLE_1)
	s_or_b32 s9, s9, s19
	s_or_b32 exec_lo, exec_lo, s20
	s_and_saveexec_b32 s19, s9
	s_cbranch_execnz .LBB0_566
	s_branch .LBB0_567
.LBB0_806:                              ;   in Loop: Header=BB0_530 Depth=2
	s_mov_b32 s9, -1
	s_mov_b32 s21, exec_lo
                                        ; implicit-def: $sgpr19
	v_cmpx_eq_u16_e32 0x80, v82
; %bb.807:                              ;   in Loop: Header=BB0_530 Depth=2
	s_mov_b32 s19, 0x7f800001
	s_xor_b32 s9, exec_lo, -1
; %bb.808:                              ;   in Loop: Header=BB0_530 Depth=2
	s_or_b32 exec_lo, exec_lo, s21
	s_delay_alu instid0(SALU_CYCLE_1)
	s_and_b32 s9, s9, exec_lo
	s_or_saveexec_b32 s20, s20
	v_mov_b32_e32 v132, s19
	s_xor_b32 exec_lo, exec_lo, s20
	s_cbranch_execz .LBB0_579
.LBB0_809:                              ;   in Loop: Header=BB0_530 Depth=2
	v_cmp_ne_u16_e32 vcc_lo, 0, v82
	v_mov_b32_e32 v132, 0
	s_and_not1_b32 s9, s9, exec_lo
	s_and_b32 s19, vcc_lo, exec_lo
	s_delay_alu instid0(SALU_CYCLE_1)
	s_or_b32 s9, s9, s19
	s_or_b32 exec_lo, exec_lo, s20
	s_and_saveexec_b32 s19, s9
	s_cbranch_execnz .LBB0_580
	s_branch .LBB0_581
.LBB0_810:                              ;   in Loop: Header=BB0_530 Depth=2
	s_mov_b32 s9, -1
	s_mov_b32 s21, exec_lo
                                        ; implicit-def: $sgpr19
	v_cmpx_eq_u16_e32 0x80, v81
; %bb.811:                              ;   in Loop: Header=BB0_530 Depth=2
	s_mov_b32 s19, 0x7f800001
	s_xor_b32 s9, exec_lo, -1
; %bb.812:                              ;   in Loop: Header=BB0_530 Depth=2
	s_or_b32 exec_lo, exec_lo, s21
	s_delay_alu instid0(SALU_CYCLE_1)
	s_and_b32 s9, s9, exec_lo
	s_or_saveexec_b32 s20, s20
	v_mov_b32_e32 v82, s19
	s_xor_b32 exec_lo, exec_lo, s20
	s_cbranch_execz .LBB0_583
.LBB0_813:                              ;   in Loop: Header=BB0_530 Depth=2
	v_cmp_ne_u16_e32 vcc_lo, 0, v81
	v_mov_b32_e32 v82, 0
	s_and_not1_b32 s9, s9, exec_lo
	s_and_b32 s19, vcc_lo, exec_lo
	s_delay_alu instid0(SALU_CYCLE_1)
	s_or_b32 s9, s9, s19
	s_or_b32 exec_lo, exec_lo, s20
	s_and_saveexec_b32 s19, s9
	s_cbranch_execnz .LBB0_584
	s_branch .LBB0_585
.LBB0_814:                              ;   in Loop: Header=BB0_530 Depth=2
	s_mov_b32 s9, -1
	s_mov_b32 s21, exec_lo
                                        ; implicit-def: $sgpr19
	v_cmpx_eq_u16_e32 0x80, v82
; %bb.815:                              ;   in Loop: Header=BB0_530 Depth=2
	s_mov_b32 s19, 0x7f800001
	s_xor_b32 s9, exec_lo, -1
; %bb.816:                              ;   in Loop: Header=BB0_530 Depth=2
	s_or_b32 exec_lo, exec_lo, s21
	s_delay_alu instid0(SALU_CYCLE_1)
	s_and_b32 s9, s9, exec_lo
	s_or_saveexec_b32 s20, s20
	v_mov_b32_e32 v132, s19
	s_xor_b32 exec_lo, exec_lo, s20
	s_cbranch_execz .LBB0_589
.LBB0_817:                              ;   in Loop: Header=BB0_530 Depth=2
	v_cmp_ne_u16_e32 vcc_lo, 0, v82
	v_mov_b32_e32 v132, 0
	s_and_not1_b32 s9, s9, exec_lo
	s_and_b32 s19, vcc_lo, exec_lo
	s_delay_alu instid0(SALU_CYCLE_1)
	s_or_b32 s9, s9, s19
	s_or_b32 exec_lo, exec_lo, s20
	s_and_saveexec_b32 s19, s9
	s_cbranch_execnz .LBB0_590
	s_branch .LBB0_591
.LBB0_818:                              ;   in Loop: Header=BB0_530 Depth=2
	s_mov_b32 s9, -1
	s_mov_b32 s21, exec_lo
                                        ; implicit-def: $sgpr19
	v_cmpx_eq_u16_e32 0x80, v81
; %bb.819:                              ;   in Loop: Header=BB0_530 Depth=2
	s_mov_b32 s19, 0x7f800001
	s_xor_b32 s9, exec_lo, -1
; %bb.820:                              ;   in Loop: Header=BB0_530 Depth=2
	s_or_b32 exec_lo, exec_lo, s21
	s_delay_alu instid0(SALU_CYCLE_1)
	s_and_b32 s9, s9, exec_lo
	s_or_saveexec_b32 s20, s20
	v_mov_b32_e32 v82, s19
	s_xor_b32 exec_lo, exec_lo, s20
	s_cbranch_execz .LBB0_593
.LBB0_821:                              ;   in Loop: Header=BB0_530 Depth=2
	v_cmp_ne_u16_e32 vcc_lo, 0, v81
	v_mov_b32_e32 v82, 0
	s_and_not1_b32 s9, s9, exec_lo
	s_and_b32 s19, vcc_lo, exec_lo
	s_delay_alu instid0(SALU_CYCLE_1)
	s_or_b32 s9, s9, s19
	s_or_b32 exec_lo, exec_lo, s20
	s_and_saveexec_b32 s19, s9
	s_cbranch_execnz .LBB0_594
	s_branch .LBB0_595
.LBB0_822:                              ;   in Loop: Header=BB0_530 Depth=2
	s_mov_b32 s9, -1
	s_mov_b32 s21, exec_lo
                                        ; implicit-def: $sgpr19
	v_cmpx_eq_u16_e64 0x80, v134
; %bb.823:                              ;   in Loop: Header=BB0_530 Depth=2
	s_mov_b32 s19, 0x7f800001
	s_xor_b32 s9, exec_lo, -1
; %bb.824:                              ;   in Loop: Header=BB0_530 Depth=2
	s_or_b32 exec_lo, exec_lo, s21
	s_delay_alu instid0(SALU_CYCLE_1)
	s_and_b32 s9, s9, exec_lo
                                        ; implicit-def: $vgpr134
	s_or_saveexec_b32 s20, s20
	v_mov_b32_e32 v133, s19
	s_xor_b32 exec_lo, exec_lo, s20
	s_cbranch_execz .LBB0_607
.LBB0_825:                              ;   in Loop: Header=BB0_530 Depth=2
	v_cmp_ne_u16_e64 vcc_lo, 0, v134
	v_mov_b32_e32 v133, 0
	s_and_not1_b32 s9, s9, exec_lo
	s_delay_alu instid0(VALU_DEP_2) | instskip(NEXT) | instid1(SALU_CYCLE_1)
	s_and_b32 s19, vcc_lo, exec_lo
	s_or_b32 s9, s9, s19
	s_or_b32 exec_lo, exec_lo, s20
	s_and_saveexec_b32 s19, s9
	s_cbranch_execnz .LBB0_608
	s_branch .LBB0_609
.LBB0_826:                              ;   in Loop: Header=BB0_530 Depth=2
	s_mov_b32 s9, -1
	s_mov_b32 s21, exec_lo
                                        ; implicit-def: $sgpr19
	v_cmpx_eq_u16_e64 0x80, v134
; %bb.827:                              ;   in Loop: Header=BB0_530 Depth=2
	s_mov_b32 s19, 0x7f800001
	s_xor_b32 s9, exec_lo, -1
; %bb.828:                              ;   in Loop: Header=BB0_530 Depth=2
	s_or_b32 exec_lo, exec_lo, s21
	s_delay_alu instid0(SALU_CYCLE_1)
	s_and_b32 s9, s9, exec_lo
                                        ; implicit-def: $vgpr134
	s_or_saveexec_b32 s20, s20
	v_mov_b32_e32 v132, s19
	s_xor_b32 exec_lo, exec_lo, s20
	s_cbranch_execz .LBB0_611
.LBB0_829:                              ;   in Loop: Header=BB0_530 Depth=2
	v_cmp_ne_u16_e64 vcc_lo, 0, v134
	v_mov_b32_e32 v132, 0
	s_and_not1_b32 s9, s9, exec_lo
	s_delay_alu instid0(VALU_DEP_2) | instskip(NEXT) | instid1(SALU_CYCLE_1)
	s_and_b32 s19, vcc_lo, exec_lo
	s_or_b32 s9, s9, s19
	s_or_b32 exec_lo, exec_lo, s20
	s_and_saveexec_b32 s19, s9
	s_cbranch_execnz .LBB0_612
	s_branch .LBB0_613
.LBB0_830:                              ;   in Loop: Header=BB0_530 Depth=2
	s_mov_b32 s9, -1
	s_mov_b32 s21, exec_lo
                                        ; implicit-def: $sgpr19
	v_cmpx_eq_u16_e64 0x80, v134
; %bb.831:                              ;   in Loop: Header=BB0_530 Depth=2
	s_mov_b32 s19, 0x7f800001
	s_xor_b32 s9, exec_lo, -1
; %bb.832:                              ;   in Loop: Header=BB0_530 Depth=2
	s_or_b32 exec_lo, exec_lo, s21
	s_delay_alu instid0(SALU_CYCLE_1)
	s_and_b32 s9, s9, exec_lo
                                        ; implicit-def: $vgpr134
	s_or_saveexec_b32 s20, s20
	v_mov_b32_e32 v133, s19
	s_xor_b32 exec_lo, exec_lo, s20
	s_cbranch_execz .LBB0_617
.LBB0_833:                              ;   in Loop: Header=BB0_530 Depth=2
	v_cmp_ne_u16_e64 vcc_lo, 0, v134
	v_mov_b32_e32 v133, 0
	s_and_not1_b32 s9, s9, exec_lo
	s_delay_alu instid0(VALU_DEP_2) | instskip(NEXT) | instid1(SALU_CYCLE_1)
	s_and_b32 s19, vcc_lo, exec_lo
	s_or_b32 s9, s9, s19
	s_or_b32 exec_lo, exec_lo, s20
	s_and_saveexec_b32 s19, s9
	s_cbranch_execnz .LBB0_618
	s_branch .LBB0_619
.LBB0_834:                              ;   in Loop: Header=BB0_530 Depth=2
	s_mov_b32 s9, -1
	s_mov_b32 s21, exec_lo
                                        ; implicit-def: $sgpr19
	v_cmpx_eq_u16_e64 0x80, v134
; %bb.835:                              ;   in Loop: Header=BB0_530 Depth=2
	s_mov_b32 s19, 0x7f800001
	s_xor_b32 s9, exec_lo, -1
; %bb.836:                              ;   in Loop: Header=BB0_530 Depth=2
	s_or_b32 exec_lo, exec_lo, s21
	s_delay_alu instid0(SALU_CYCLE_1)
	s_and_b32 s9, s9, exec_lo
                                        ; implicit-def: $vgpr134
	s_or_saveexec_b32 s20, s20
	v_mov_b32_e32 v132, s19
	s_xor_b32 exec_lo, exec_lo, s20
	s_cbranch_execz .LBB0_621
.LBB0_837:                              ;   in Loop: Header=BB0_530 Depth=2
	v_cmp_ne_u16_e64 vcc_lo, 0, v134
	v_mov_b32_e32 v132, 0
	s_and_not1_b32 s9, s9, exec_lo
	s_delay_alu instid0(VALU_DEP_2) | instskip(NEXT) | instid1(SALU_CYCLE_1)
	s_and_b32 s19, vcc_lo, exec_lo
	s_or_b32 s9, s9, s19
	s_or_b32 exec_lo, exec_lo, s20
	s_and_saveexec_b32 s19, s9
	s_cbranch_execnz .LBB0_622
	s_branch .LBB0_623
.LBB0_838:                              ;   in Loop: Header=BB0_530 Depth=2
	s_mov_b32 s9, -1
	s_mov_b32 s21, exec_lo
                                        ; implicit-def: $sgpr19
	v_cmpx_eq_u16_e64 0x80, v133
; %bb.839:                              ;   in Loop: Header=BB0_530 Depth=2
	s_mov_b32 s19, 0x7f800001
	s_xor_b32 s9, exec_lo, -1
; %bb.840:                              ;   in Loop: Header=BB0_530 Depth=2
	s_or_b32 exec_lo, exec_lo, s21
	s_delay_alu instid0(SALU_CYCLE_1)
	s_and_b32 s9, s9, exec_lo
	s_or_saveexec_b32 s20, s20
	v_mov_b32_e32 v134, s19
	s_xor_b32 exec_lo, exec_lo, s20
	s_cbranch_execz .LBB0_635
.LBB0_841:                              ;   in Loop: Header=BB0_530 Depth=2
	v_cmp_ne_u16_e64 vcc_lo, 0, v133
	v_mov_b32_e32 v134, 0
	s_and_not1_b32 s9, s9, exec_lo
	s_delay_alu instid0(VALU_DEP_2) | instskip(NEXT) | instid1(SALU_CYCLE_1)
	s_and_b32 s19, vcc_lo, exec_lo
	s_or_b32 s9, s9, s19
	s_or_b32 exec_lo, exec_lo, s20
	s_and_saveexec_b32 s19, s9
	s_cbranch_execnz .LBB0_636
	s_branch .LBB0_637
.LBB0_842:                              ;   in Loop: Header=BB0_530 Depth=2
	s_mov_b32 s9, -1
	s_mov_b32 s21, exec_lo
                                        ; implicit-def: $sgpr19
	v_cmpx_eq_u16_e64 0x80, v132
; %bb.843:                              ;   in Loop: Header=BB0_530 Depth=2
	s_mov_b32 s19, 0x7f800001
	s_xor_b32 s9, exec_lo, -1
; %bb.844:                              ;   in Loop: Header=BB0_530 Depth=2
	s_or_b32 exec_lo, exec_lo, s21
	s_delay_alu instid0(SALU_CYCLE_1)
	s_and_b32 s9, s9, exec_lo
	s_or_saveexec_b32 s20, s20
	v_mov_b32_e32 v17, s19
	s_xor_b32 exec_lo, exec_lo, s20
	s_cbranch_execz .LBB0_639
.LBB0_845:                              ;   in Loop: Header=BB0_530 Depth=2
	v_cmp_ne_u16_e64 vcc_lo, 0, v132
	v_mov_b32_e32 v17, 0
	s_and_not1_b32 s9, s9, exec_lo
	s_delay_alu instid0(VALU_DEP_2) | instskip(NEXT) | instid1(SALU_CYCLE_1)
	s_and_b32 s19, vcc_lo, exec_lo
	s_or_b32 s9, s9, s19
	s_or_b32 exec_lo, exec_lo, s20
	s_and_saveexec_b32 s19, s9
	s_cbranch_execnz .LBB0_640
	s_branch .LBB0_641
.LBB0_846:                              ;   in Loop: Header=BB0_530 Depth=2
	s_mov_b32 s9, -1
	s_mov_b32 s21, exec_lo
                                        ; implicit-def: $sgpr19
	v_cmpx_eq_u16_e64 0x80, v133
; %bb.847:                              ;   in Loop: Header=BB0_530 Depth=2
	s_mov_b32 s19, 0x7f800001
	s_xor_b32 s9, exec_lo, -1
; %bb.848:                              ;   in Loop: Header=BB0_530 Depth=2
	s_or_b32 exec_lo, exec_lo, s21
	s_delay_alu instid0(SALU_CYCLE_1)
	s_and_b32 s9, s9, exec_lo
	s_or_saveexec_b32 s20, s20
	v_mov_b32_e32 v134, s19
	s_xor_b32 exec_lo, exec_lo, s20
	s_cbranch_execz .LBB0_645
.LBB0_849:                              ;   in Loop: Header=BB0_530 Depth=2
	v_cmp_ne_u16_e64 vcc_lo, 0, v133
	v_mov_b32_e32 v134, 0
	s_and_not1_b32 s9, s9, exec_lo
	s_delay_alu instid0(VALU_DEP_2) | instskip(NEXT) | instid1(SALU_CYCLE_1)
	s_and_b32 s19, vcc_lo, exec_lo
	s_or_b32 s9, s9, s19
	s_or_b32 exec_lo, exec_lo, s20
	s_and_saveexec_b32 s19, s9
	s_cbranch_execnz .LBB0_646
	s_branch .LBB0_647
.LBB0_850:                              ;   in Loop: Header=BB0_530 Depth=2
	s_mov_b32 s9, -1
	s_mov_b32 s21, exec_lo
                                        ; implicit-def: $sgpr19
	v_cmpx_eq_u16_e64 0x80, v132
; %bb.851:                              ;   in Loop: Header=BB0_530 Depth=2
	s_mov_b32 s19, 0x7f800001
	s_xor_b32 s9, exec_lo, -1
; %bb.852:                              ;   in Loop: Header=BB0_530 Depth=2
	s_or_b32 exec_lo, exec_lo, s21
	s_delay_alu instid0(SALU_CYCLE_1)
	s_and_b32 s9, s9, exec_lo
	s_or_saveexec_b32 s20, s20
	v_mov_b32_e32 v17, s19
	s_xor_b32 exec_lo, exec_lo, s20
	s_cbranch_execz .LBB0_649
.LBB0_853:                              ;   in Loop: Header=BB0_530 Depth=2
	v_cmp_ne_u16_e64 vcc_lo, 0, v132
	v_mov_b32_e32 v17, 0
	s_and_not1_b32 s9, s9, exec_lo
	s_delay_alu instid0(VALU_DEP_2) | instskip(NEXT) | instid1(SALU_CYCLE_1)
	s_and_b32 s19, vcc_lo, exec_lo
	s_or_b32 s9, s9, s19
	s_or_b32 exec_lo, exec_lo, s20
	s_and_saveexec_b32 s19, s9
	s_cbranch_execnz .LBB0_650
	s_branch .LBB0_651
.LBB0_854:                              ;   in Loop: Header=BB0_530 Depth=2
	s_mov_b32 s9, -1
	s_mov_b32 s21, exec_lo
                                        ; implicit-def: $sgpr19
	v_cmpx_eq_u16_e32 0x80, v18
; %bb.855:                              ;   in Loop: Header=BB0_530 Depth=2
	s_mov_b32 s19, 0x7f800001
	s_xor_b32 s9, exec_lo, -1
; %bb.856:                              ;   in Loop: Header=BB0_530 Depth=2
	s_or_b32 exec_lo, exec_lo, s21
	s_delay_alu instid0(SALU_CYCLE_1)
	s_and_b32 s9, s9, exec_lo
                                        ; implicit-def: $vgpr18
	s_or_saveexec_b32 s20, s20
	v_mov_b32_e32 v17, s19
	s_xor_b32 exec_lo, exec_lo, s20
	s_cbranch_execz .LBB0_663
.LBB0_857:                              ;   in Loop: Header=BB0_530 Depth=2
	v_cmp_ne_u16_e32 vcc_lo, 0, v18
	v_mov_b32_e32 v17, 0
	s_and_not1_b32 s9, s9, exec_lo
	s_and_b32 s19, vcc_lo, exec_lo
	s_delay_alu instid0(SALU_CYCLE_1)
	s_or_b32 s9, s9, s19
	s_or_b32 exec_lo, exec_lo, s20
	s_and_saveexec_b32 s19, s9
	s_cbranch_execnz .LBB0_664
	s_branch .LBB0_665
.LBB0_858:                              ;   in Loop: Header=BB0_530 Depth=2
	s_mov_b32 s9, -1
	s_mov_b32 s21, exec_lo
                                        ; implicit-def: $sgpr19
	v_cmpx_eq_u16_e32 0x80, v96
; %bb.859:                              ;   in Loop: Header=BB0_530 Depth=2
	s_mov_b32 s19, 0x7f800001
	s_xor_b32 s9, exec_lo, -1
; %bb.860:                              ;   in Loop: Header=BB0_530 Depth=2
	s_or_b32 exec_lo, exec_lo, s21
	s_delay_alu instid0(SALU_CYCLE_1)
	s_and_b32 s9, s9, exec_lo
                                        ; implicit-def: $vgpr96
	s_or_saveexec_b32 s20, s20
	v_mov_b32_e32 v18, s19
	s_xor_b32 exec_lo, exec_lo, s20
	s_cbranch_execz .LBB0_667
.LBB0_861:                              ;   in Loop: Header=BB0_530 Depth=2
	v_cmp_ne_u16_e32 vcc_lo, 0, v96
	v_mov_b32_e32 v18, 0
	s_and_not1_b32 s9, s9, exec_lo
	s_and_b32 s19, vcc_lo, exec_lo
	s_delay_alu instid0(SALU_CYCLE_1)
	s_or_b32 s9, s9, s19
	s_or_b32 exec_lo, exec_lo, s20
	s_and_saveexec_b32 s19, s9
	s_cbranch_execnz .LBB0_668
	s_branch .LBB0_669
.LBB0_862:                              ;   in Loop: Header=BB0_530 Depth=2
	s_mov_b32 s9, -1
	s_mov_b32 s21, exec_lo
                                        ; implicit-def: $sgpr19
	v_cmpx_eq_u16_e32 0x80, v18
; %bb.863:                              ;   in Loop: Header=BB0_530 Depth=2
	s_mov_b32 s19, 0x7f800001
	s_xor_b32 s9, exec_lo, -1
; %bb.864:                              ;   in Loop: Header=BB0_530 Depth=2
	s_or_b32 exec_lo, exec_lo, s21
	s_delay_alu instid0(SALU_CYCLE_1)
	s_and_b32 s9, s9, exec_lo
                                        ; implicit-def: $vgpr18
	s_or_saveexec_b32 s20, s20
	v_mov_b32_e32 v17, s19
	s_xor_b32 exec_lo, exec_lo, s20
	s_cbranch_execz .LBB0_673
.LBB0_865:                              ;   in Loop: Header=BB0_530 Depth=2
	v_cmp_ne_u16_e32 vcc_lo, 0, v18
	v_mov_b32_e32 v17, 0
	s_and_not1_b32 s9, s9, exec_lo
	s_and_b32 s19, vcc_lo, exec_lo
	s_delay_alu instid0(SALU_CYCLE_1)
	s_or_b32 s9, s9, s19
	s_or_b32 exec_lo, exec_lo, s20
	s_and_saveexec_b32 s19, s9
	s_cbranch_execnz .LBB0_674
	s_branch .LBB0_675
.LBB0_866:                              ;   in Loop: Header=BB0_530 Depth=2
	s_mov_b32 s9, -1
	s_mov_b32 s21, exec_lo
                                        ; implicit-def: $sgpr19
	v_cmpx_eq_u16_e32 0x80, v96
; %bb.867:                              ;   in Loop: Header=BB0_530 Depth=2
	s_mov_b32 s19, 0x7f800001
	s_xor_b32 s9, exec_lo, -1
; %bb.868:                              ;   in Loop: Header=BB0_530 Depth=2
	s_or_b32 exec_lo, exec_lo, s21
	s_delay_alu instid0(SALU_CYCLE_1)
	s_and_b32 s9, s9, exec_lo
                                        ; implicit-def: $vgpr96
	s_or_saveexec_b32 s20, s20
	v_mov_b32_e32 v18, s19
	s_xor_b32 exec_lo, exec_lo, s20
	s_cbranch_execz .LBB0_677
.LBB0_869:                              ;   in Loop: Header=BB0_530 Depth=2
	v_cmp_ne_u16_e32 vcc_lo, 0, v96
	v_mov_b32_e32 v18, 0
	s_and_not1_b32 s9, s9, exec_lo
	s_and_b32 s19, vcc_lo, exec_lo
	s_delay_alu instid0(SALU_CYCLE_1)
	s_or_b32 s9, s9, s19
	s_or_b32 exec_lo, exec_lo, s20
	s_and_saveexec_b32 s19, s9
	s_cbranch_execnz .LBB0_678
	s_branch .LBB0_679
.LBB0_870:                              ;   in Loop: Header=BB0_530 Depth=2
	s_mov_b32 s9, -1
	s_mov_b32 s21, exec_lo
                                        ; implicit-def: $sgpr19
	v_cmpx_eq_u16_e64 0x80, v133
; %bb.871:                              ;   in Loop: Header=BB0_530 Depth=2
	s_mov_b32 s19, 0x7f800001
	s_xor_b32 s9, exec_lo, -1
; %bb.872:                              ;   in Loop: Header=BB0_530 Depth=2
	s_or_b32 exec_lo, exec_lo, s21
	s_delay_alu instid0(SALU_CYCLE_1)
	s_and_b32 s9, s9, exec_lo
	s_or_saveexec_b32 s20, s20
	v_mov_b32_e32 v18, s19
	s_xor_b32 exec_lo, exec_lo, s20
	s_cbranch_execz .LBB0_691
.LBB0_873:                              ;   in Loop: Header=BB0_530 Depth=2
	v_cmp_ne_u16_e64 vcc_lo, 0, v133
	v_mov_b32_e32 v18, 0
	s_and_not1_b32 s9, s9, exec_lo
	s_delay_alu instid0(VALU_DEP_2) | instskip(NEXT) | instid1(SALU_CYCLE_1)
	s_and_b32 s19, vcc_lo, exec_lo
	s_or_b32 s9, s9, s19
	s_or_b32 exec_lo, exec_lo, s20
	s_and_saveexec_b32 s19, s9
	s_cbranch_execnz .LBB0_692
	s_branch .LBB0_693
.LBB0_874:                              ;   in Loop: Header=BB0_530 Depth=2
	s_mov_b32 s9, -1
	s_mov_b32 s21, exec_lo
                                        ; implicit-def: $sgpr19
	v_cmpx_eq_u16_e64 0x80, v132
; %bb.875:                              ;   in Loop: Header=BB0_530 Depth=2
	s_mov_b32 s19, 0x7f800001
	s_xor_b32 s9, exec_lo, -1
; %bb.876:                              ;   in Loop: Header=BB0_530 Depth=2
	s_or_b32 exec_lo, exec_lo, s21
	s_delay_alu instid0(SALU_CYCLE_1)
	s_and_b32 s9, s9, exec_lo
	s_or_saveexec_b32 s20, s20
	v_mov_b32_e32 v17, s19
	s_xor_b32 exec_lo, exec_lo, s20
	s_cbranch_execz .LBB0_695
.LBB0_877:                              ;   in Loop: Header=BB0_530 Depth=2
	v_cmp_ne_u16_e64 vcc_lo, 0, v132
	v_mov_b32_e32 v17, 0
	s_and_not1_b32 s9, s9, exec_lo
	s_delay_alu instid0(VALU_DEP_2) | instskip(NEXT) | instid1(SALU_CYCLE_1)
	s_and_b32 s19, vcc_lo, exec_lo
	s_or_b32 s9, s9, s19
	s_or_b32 exec_lo, exec_lo, s20
	s_and_saveexec_b32 s19, s9
	s_cbranch_execnz .LBB0_696
	s_branch .LBB0_697
.LBB0_878:                              ;   in Loop: Header=BB0_530 Depth=2
	s_mov_b32 s9, -1
	s_mov_b32 s21, exec_lo
                                        ; implicit-def: $sgpr19
	v_cmpx_eq_u16_e64 0x80, v133
; %bb.879:                              ;   in Loop: Header=BB0_530 Depth=2
	s_mov_b32 s19, 0x7f800001
	s_xor_b32 s9, exec_lo, -1
; %bb.880:                              ;   in Loop: Header=BB0_530 Depth=2
	s_or_b32 exec_lo, exec_lo, s21
	s_delay_alu instid0(SALU_CYCLE_1)
	s_and_b32 s9, s9, exec_lo
	s_or_saveexec_b32 s20, s20
	v_mov_b32_e32 v18, s19
	s_xor_b32 exec_lo, exec_lo, s20
	s_cbranch_execz .LBB0_701
.LBB0_881:                              ;   in Loop: Header=BB0_530 Depth=2
	v_cmp_ne_u16_e64 vcc_lo, 0, v133
	v_mov_b32_e32 v18, 0
	s_and_not1_b32 s9, s9, exec_lo
	s_delay_alu instid0(VALU_DEP_2) | instskip(NEXT) | instid1(SALU_CYCLE_1)
	s_and_b32 s19, vcc_lo, exec_lo
	s_or_b32 s9, s9, s19
	s_or_b32 exec_lo, exec_lo, s20
	s_and_saveexec_b32 s19, s9
	s_cbranch_execnz .LBB0_702
	s_branch .LBB0_703
.LBB0_882:                              ;   in Loop: Header=BB0_530 Depth=2
	s_mov_b32 s9, -1
	s_mov_b32 s21, exec_lo
                                        ; implicit-def: $sgpr19
	v_cmpx_eq_u16_e64 0x80, v132
; %bb.883:                              ;   in Loop: Header=BB0_530 Depth=2
	s_mov_b32 s19, 0x7f800001
	s_xor_b32 s9, exec_lo, -1
; %bb.884:                              ;   in Loop: Header=BB0_530 Depth=2
	s_or_b32 exec_lo, exec_lo, s21
	s_delay_alu instid0(SALU_CYCLE_1)
	s_and_b32 s9, s9, exec_lo
	s_or_saveexec_b32 s20, s20
	v_mov_b32_e32 v17, s19
	s_xor_b32 exec_lo, exec_lo, s20
	s_cbranch_execz .LBB0_705
.LBB0_885:                              ;   in Loop: Header=BB0_530 Depth=2
	v_cmp_ne_u16_e64 vcc_lo, 0, v132
	v_mov_b32_e32 v17, 0
	s_and_not1_b32 s9, s9, exec_lo
	s_delay_alu instid0(VALU_DEP_2) | instskip(NEXT) | instid1(SALU_CYCLE_1)
	s_and_b32 s19, vcc_lo, exec_lo
	s_or_b32 s9, s9, s19
	s_or_b32 exec_lo, exec_lo, s20
	s_and_saveexec_b32 s19, s9
	s_cbranch_execnz .LBB0_706
	s_branch .LBB0_707
.LBB0_886:                              ;   in Loop: Header=BB0_530 Depth=2
	s_mov_b32 s9, -1
	s_mov_b32 s21, exec_lo
                                        ; implicit-def: $sgpr19
	v_cmpx_eq_u16_e64 0x80, v134
; %bb.887:                              ;   in Loop: Header=BB0_530 Depth=2
	s_mov_b32 s19, 0x7f800001
	s_xor_b32 s9, exec_lo, -1
; %bb.888:                              ;   in Loop: Header=BB0_530 Depth=2
	s_or_b32 exec_lo, exec_lo, s21
	s_delay_alu instid0(SALU_CYCLE_1)
	s_and_b32 s9, s9, exec_lo
                                        ; implicit-def: $vgpr134
	s_or_saveexec_b32 s20, s20
	v_mov_b32_e32 v133, s19
	s_xor_b32 exec_lo, exec_lo, s20
	s_cbranch_execz .LBB0_719
.LBB0_889:                              ;   in Loop: Header=BB0_530 Depth=2
	v_cmp_ne_u16_e64 vcc_lo, 0, v134
	v_mov_b32_e32 v133, 0
	s_and_not1_b32 s9, s9, exec_lo
	s_delay_alu instid0(VALU_DEP_2) | instskip(NEXT) | instid1(SALU_CYCLE_1)
	s_and_b32 s19, vcc_lo, exec_lo
	s_or_b32 s9, s9, s19
	s_or_b32 exec_lo, exec_lo, s20
	s_and_saveexec_b32 s19, s9
	s_cbranch_execnz .LBB0_720
	s_branch .LBB0_721
.LBB0_890:                              ;   in Loop: Header=BB0_530 Depth=2
	s_mov_b32 s9, -1
	s_mov_b32 s21, exec_lo
                                        ; implicit-def: $sgpr19
	v_cmpx_eq_u16_e64 0x80, v134
; %bb.891:                              ;   in Loop: Header=BB0_530 Depth=2
	s_mov_b32 s19, 0x7f800001
	s_xor_b32 s9, exec_lo, -1
; %bb.892:                              ;   in Loop: Header=BB0_530 Depth=2
	s_or_b32 exec_lo, exec_lo, s21
	s_delay_alu instid0(SALU_CYCLE_1)
	s_and_b32 s9, s9, exec_lo
                                        ; implicit-def: $vgpr134
	s_or_saveexec_b32 s20, s20
	v_mov_b32_e32 v132, s19
	s_xor_b32 exec_lo, exec_lo, s20
	s_cbranch_execz .LBB0_723
.LBB0_893:                              ;   in Loop: Header=BB0_530 Depth=2
	v_cmp_ne_u16_e64 vcc_lo, 0, v134
	v_mov_b32_e32 v132, 0
	s_and_not1_b32 s9, s9, exec_lo
	s_delay_alu instid0(VALU_DEP_2) | instskip(NEXT) | instid1(SALU_CYCLE_1)
	s_and_b32 s19, vcc_lo, exec_lo
	s_or_b32 s9, s9, s19
	s_or_b32 exec_lo, exec_lo, s20
	s_and_saveexec_b32 s19, s9
	s_cbranch_execnz .LBB0_724
	s_branch .LBB0_725
.LBB0_894:                              ;   in Loop: Header=BB0_530 Depth=2
	s_mov_b32 s9, -1
	s_mov_b32 s21, exec_lo
                                        ; implicit-def: $sgpr19
	v_cmpx_eq_u16_e64 0x80, v134
; %bb.895:                              ;   in Loop: Header=BB0_530 Depth=2
	s_mov_b32 s19, 0x7f800001
	s_xor_b32 s9, exec_lo, -1
; %bb.896:                              ;   in Loop: Header=BB0_530 Depth=2
	s_or_b32 exec_lo, exec_lo, s21
	s_delay_alu instid0(SALU_CYCLE_1)
	s_and_b32 s9, s9, exec_lo
                                        ; implicit-def: $vgpr134
	s_or_saveexec_b32 s20, s20
	v_mov_b32_e32 v133, s19
	s_xor_b32 exec_lo, exec_lo, s20
	s_cbranch_execz .LBB0_729
.LBB0_897:                              ;   in Loop: Header=BB0_530 Depth=2
	v_cmp_ne_u16_e64 vcc_lo, 0, v134
	v_mov_b32_e32 v133, 0
	s_and_not1_b32 s9, s9, exec_lo
	s_delay_alu instid0(VALU_DEP_2) | instskip(NEXT) | instid1(SALU_CYCLE_1)
	s_and_b32 s19, vcc_lo, exec_lo
	s_or_b32 s9, s9, s19
	s_or_b32 exec_lo, exec_lo, s20
	s_and_saveexec_b32 s19, s9
	s_cbranch_execnz .LBB0_730
	s_branch .LBB0_731
.LBB0_898:                              ;   in Loop: Header=BB0_530 Depth=2
	s_mov_b32 s9, -1
	s_mov_b32 s21, exec_lo
                                        ; implicit-def: $sgpr19
	v_cmpx_eq_u16_e64 0x80, v134
; %bb.899:                              ;   in Loop: Header=BB0_530 Depth=2
	s_mov_b32 s19, 0x7f800001
	s_xor_b32 s9, exec_lo, -1
; %bb.900:                              ;   in Loop: Header=BB0_530 Depth=2
	s_or_b32 exec_lo, exec_lo, s21
	s_delay_alu instid0(SALU_CYCLE_1)
	s_and_b32 s9, s9, exec_lo
                                        ; implicit-def: $vgpr134
	s_or_saveexec_b32 s20, s20
	v_mov_b32_e32 v132, s19
	s_xor_b32 exec_lo, exec_lo, s20
	s_cbranch_execz .LBB0_733
.LBB0_901:                              ;   in Loop: Header=BB0_530 Depth=2
	v_cmp_ne_u16_e64 vcc_lo, 0, v134
	v_mov_b32_e32 v132, 0
	s_and_not1_b32 s9, s9, exec_lo
	s_delay_alu instid0(VALU_DEP_2) | instskip(NEXT) | instid1(SALU_CYCLE_1)
	s_and_b32 s19, vcc_lo, exec_lo
	s_or_b32 s9, s9, s19
	s_or_b32 exec_lo, exec_lo, s20
	s_and_saveexec_b32 s19, s9
	s_cbranch_execnz .LBB0_734
	s_branch .LBB0_735
.LBB0_902:                              ;   in Loop: Header=BB0_530 Depth=2
	s_mov_b32 s9, -1
	s_mov_b32 s21, exec_lo
                                        ; implicit-def: $sgpr19
	v_cmpx_eq_u16_e32 0x80, v18
; %bb.903:                              ;   in Loop: Header=BB0_530 Depth=2
	s_mov_b32 s19, 0x7f800001
	s_xor_b32 s9, exec_lo, -1
; %bb.904:                              ;   in Loop: Header=BB0_530 Depth=2
	s_or_b32 exec_lo, exec_lo, s21
	s_delay_alu instid0(SALU_CYCLE_1)
	s_and_b32 s9, s9, exec_lo
	s_or_saveexec_b32 s20, s20
	v_mov_b32_e32 v134, s19
	s_xor_b32 exec_lo, exec_lo, s20
	s_cbranch_execz .LBB0_747
.LBB0_905:                              ;   in Loop: Header=BB0_530 Depth=2
	v_cmp_ne_u16_e32 vcc_lo, 0, v18
	v_mov_b32_e32 v134, 0
	s_and_not1_b32 s9, s9, exec_lo
	s_and_b32 s19, vcc_lo, exec_lo
	s_delay_alu instid0(SALU_CYCLE_1)
	s_or_b32 s9, s9, s19
	s_or_b32 exec_lo, exec_lo, s20
	s_and_saveexec_b32 s19, s9
	s_cbranch_execnz .LBB0_748
	s_branch .LBB0_749
.LBB0_906:                              ;   in Loop: Header=BB0_530 Depth=2
	s_mov_b32 s9, -1
	s_mov_b32 s21, exec_lo
                                        ; implicit-def: $sgpr19
	v_cmpx_eq_u16_e64 0x80, v133
; %bb.907:                              ;   in Loop: Header=BB0_530 Depth=2
	s_mov_b32 s19, 0x7f800001
	s_xor_b32 s9, exec_lo, -1
; %bb.908:                              ;   in Loop: Header=BB0_530 Depth=2
	s_or_b32 exec_lo, exec_lo, s21
	s_delay_alu instid0(SALU_CYCLE_1)
	s_and_b32 s9, s9, exec_lo
	s_or_saveexec_b32 s20, s20
	v_mov_b32_e32 v18, s19
	s_xor_b32 exec_lo, exec_lo, s20
	s_cbranch_execz .LBB0_751
.LBB0_909:                              ;   in Loop: Header=BB0_530 Depth=2
	v_cmp_ne_u16_e64 vcc_lo, 0, v133
	v_mov_b32_e32 v18, 0
	s_and_not1_b32 s9, s9, exec_lo
	s_delay_alu instid0(VALU_DEP_2) | instskip(NEXT) | instid1(SALU_CYCLE_1)
	s_and_b32 s19, vcc_lo, exec_lo
	s_or_b32 s9, s9, s19
	s_or_b32 exec_lo, exec_lo, s20
	s_and_saveexec_b32 s19, s9
	s_cbranch_execnz .LBB0_752
	s_branch .LBB0_753
.LBB0_910:                              ;   in Loop: Header=BB0_530 Depth=2
	s_mov_b32 s9, -1
	s_mov_b32 s21, exec_lo
                                        ; implicit-def: $sgpr19
	v_cmpx_eq_u16_e32 0x80, v18
; %bb.911:                              ;   in Loop: Header=BB0_530 Depth=2
	s_mov_b32 s19, 0x7f800001
	s_xor_b32 s9, exec_lo, -1
; %bb.912:                              ;   in Loop: Header=BB0_530 Depth=2
	s_or_b32 exec_lo, exec_lo, s21
	s_delay_alu instid0(SALU_CYCLE_1)
	s_and_b32 s9, s9, exec_lo
	s_or_saveexec_b32 s20, s20
	v_mov_b32_e32 v134, s19
	s_xor_b32 exec_lo, exec_lo, s20
	s_cbranch_execz .LBB0_757
.LBB0_913:                              ;   in Loop: Header=BB0_530 Depth=2
	v_cmp_ne_u16_e32 vcc_lo, 0, v18
	v_mov_b32_e32 v134, 0
	s_and_not1_b32 s9, s9, exec_lo
	s_and_b32 s19, vcc_lo, exec_lo
	s_delay_alu instid0(SALU_CYCLE_1)
	s_or_b32 s9, s9, s19
	s_or_b32 exec_lo, exec_lo, s20
	s_and_saveexec_b32 s19, s9
	s_cbranch_execnz .LBB0_758
	s_branch .LBB0_759
.LBB0_914:                              ;   in Loop: Header=BB0_530 Depth=2
	s_mov_b32 s9, -1
	s_mov_b32 s21, exec_lo
                                        ; implicit-def: $sgpr19
	v_cmpx_eq_u16_e64 0x80, v133
; %bb.915:                              ;   in Loop: Header=BB0_530 Depth=2
	s_mov_b32 s19, 0x7f800001
	s_xor_b32 s9, exec_lo, -1
; %bb.916:                              ;   in Loop: Header=BB0_530 Depth=2
	s_or_b32 exec_lo, exec_lo, s21
	s_delay_alu instid0(SALU_CYCLE_1)
	s_and_b32 s9, s9, exec_lo
	s_or_saveexec_b32 s20, s20
	v_mov_b32_e32 v18, s19
	s_xor_b32 exec_lo, exec_lo, s20
	s_cbranch_execz .LBB0_761
.LBB0_917:                              ;   in Loop: Header=BB0_530 Depth=2
	v_cmp_ne_u16_e64 vcc_lo, 0, v133
	v_mov_b32_e32 v18, 0
	s_and_not1_b32 s9, s9, exec_lo
	s_delay_alu instid0(VALU_DEP_2) | instskip(NEXT) | instid1(SALU_CYCLE_1)
	s_and_b32 s19, vcc_lo, exec_lo
	s_or_b32 s9, s9, s19
	s_or_b32 exec_lo, exec_lo, s20
	s_and_saveexec_b32 s19, s9
	s_cbranch_execnz .LBB0_762
	s_branch .LBB0_763
.LBB0_918:                              ;   in Loop: Header=BB0_32 Depth=1
	s_or_b32 exec_lo, exec_lo, s18
.LBB0_919:                              ;   in Loop: Header=BB0_32 Depth=1
	s_delay_alu instid0(SALU_CYCLE_1)
	s_or_b32 exec_lo, exec_lo, s10
	s_and_saveexec_b32 s8, s3
	s_cbranch_execz .LBB0_941
; %bb.920:                              ;   in Loop: Header=BB0_32 Depth=1
	s_and_saveexec_b32 s9, s4
	s_delay_alu instid0(SALU_CYCLE_1)
	s_xor_b32 s9, exec_lo, s9
	s_cbranch_execz .LBB0_938
; %bb.921:                              ;   in Loop: Header=BB0_32 Depth=1
	s_and_saveexec_b32 s10, s5
	s_cbranch_execz .LBB0_937
; %bb.922:                              ;   in Loop: Header=BB0_32 Depth=1
	s_mov_b32 s19, exec_lo
	s_mov_b32 s18, exec_lo
	v_mbcnt_lo_u32_b32 v17, s19, 0
	s_waitcnt vmcnt(0) lgkmcnt(0)
	s_waitcnt_vscnt null, 0x0
	buffer_gl1_inv
	buffer_gl0_inv
	v_cmpx_eq_u32_e32 0, v17
	s_cbranch_execz .LBB0_924
; %bb.923:                              ;   in Loop: Header=BB0_32 Depth=1
	s_bcnt1_i32_b32 s19, s19
	s_delay_alu instid0(SALU_CYCLE_1)
	v_mov_b32_e32 v54, s19
	ds_add_u64 v0, v[54:55]
	s_cbranch_execnz .LBB0_1010
.LBB0_924:                              ;   in Loop: Header=BB0_32 Depth=1
	s_or_b32 exec_lo, exec_lo, s18
	s_cbranch_execnz .LBB0_998
; %bb.925:                              ;   in Loop: Header=BB0_32 Depth=1
	ds_load_b64 v[17:18], v0
	v_add_co_u32 v2, vcc_lo, v2, v100
	v_add_co_ci_u32_e32 v3, vcc_lo, v3, v103, vcc_lo
	s_mov_b32 s18, exec_lo
	s_waitcnt lgkmcnt(0)
	s_delay_alu instid0(VALU_DEP_1)
	v_cmpx_lt_u64_e64 v[17:18], v[2:3]
	s_cbranch_execz .LBB0_936
; %bb.926:                              ;   in Loop: Header=BB0_32 Depth=1
	s_mov_b32 s19, 0
	s_mov_b32 s22, 0
                                        ; implicit-def: $sgpr20
                                        ; implicit-def: $sgpr21
	s_branch .LBB0_928
.LBB0_927:                              ;   in Loop: Header=BB0_928 Depth=2
	s_or_b32 exec_lo, exec_lo, s25
	s_delay_alu instid0(SALU_CYCLE_1) | instskip(NEXT) | instid1(SALU_CYCLE_1)
	s_and_b32 s23, exec_lo, s24
	s_or_b32 s19, s23, s19
	s_and_not1_b32 s20, s20, exec_lo
	s_and_b32 s23, s21, exec_lo
	s_delay_alu instid0(SALU_CYCLE_1)
	s_or_b32 s20, s20, s23
	s_and_not1_b32 exec_lo, exec_lo, s19
	s_cbranch_execz .LBB0_934
.LBB0_928:                              ;   Parent Loop BB0_32 Depth=1
                                        ; =>  This Inner Loop Header: Depth=2
	s_add_i32 s22, s22, 1
                                        ; implicit-def: $sgpr24
	s_delay_alu instid0(SALU_CYCLE_1) | instskip(SKIP_1) | instid1(SALU_CYCLE_1)
	s_cmpk_lg_i32 s22, 0x2710
	s_cselect_b32 s23, -1, 0
	s_and_b32 vcc_lo, exec_lo, s23
	s_cbranch_vccz .LBB0_932
.LBB0_929:                              ;   in Loop: Header=BB0_928 Depth=2
	s_and_not1_b32 s21, s21, exec_lo
	s_and_b32 s25, s24, exec_lo
	s_mov_b32 s24, -1
	s_or_b32 s21, s21, s25
	s_and_saveexec_b32 s25, s23
	s_cbranch_execz .LBB0_927
; %bb.930:                              ;   in Loop: Header=BB0_928 Depth=2
	s_sleep 1
	s_cbranch_execnz .LBB0_1018
; %bb.931:                              ;   in Loop: Header=BB0_928 Depth=2
	ds_load_b64 v[17:18], v0
	s_and_not1_b32 s21, s21, exec_lo
	s_waitcnt lgkmcnt(0)
	v_cmp_ge_u64_e32 vcc_lo, v[17:18], v[2:3]
	s_or_not1_b32 s24, vcc_lo, exec_lo
	s_branch .LBB0_927
.LBB0_932:                              ;   in Loop: Header=BB0_928 Depth=2
	s_cbranch_execnz .LBB0_1020
; %bb.933:                              ;   in Loop: Header=BB0_928 Depth=2
	ds_load_b64 v[17:18], v0
	s_and_not1_b32 s23, s23, exec_lo
	s_mov_b32 s22, 0
	s_mov_b32 s24, -1
	s_waitcnt lgkmcnt(0)
	flat_load_b32 v17, v[17:18] glc
	s_waitcnt vmcnt(0) lgkmcnt(0)
	buffer_gl1_inv
	buffer_gl0_inv
	v_cmp_eq_u32_e32 vcc_lo, 0, v17
	s_and_b32 s25, vcc_lo, exec_lo
	s_delay_alu instid0(SALU_CYCLE_1)
	s_or_b32 s23, s23, s25
	s_branch .LBB0_929
.LBB0_934:                              ;   in Loop: Header=BB0_32 Depth=1
	s_or_b32 exec_lo, exec_lo, s19
	s_and_saveexec_b32 s19, s20
	s_delay_alu instid0(SALU_CYCLE_1)
	s_xor_b32 s19, exec_lo, s19
	s_cbranch_execz .LBB0_936
; %bb.935:                              ;   in Loop: Header=BB0_32 Depth=1
	ds_store_b32 v0, v129
	s_cbranch_execnz .LBB0_1037
.LBB0_936:                              ;   in Loop: Header=BB0_32 Depth=1
	s_or_b32 exec_lo, exec_lo, s18
	;;#ASMSTART
	s_wakeup
	;;#ASMEND
.LBB0_937:                              ;   in Loop: Header=BB0_32 Depth=1
	s_or_b32 exec_lo, exec_lo, s10
.LBB0_938:                              ;   in Loop: Header=BB0_32 Depth=1
	s_and_not1_saveexec_b32 s9, s9
	s_cbranch_execz .LBB0_940
; %bb.939:                              ;   in Loop: Header=BB0_32 Depth=1
	s_waitcnt vmcnt(0) lgkmcnt(0)
	s_waitcnt_vscnt null, 0x0
	buffer_gl1_inv
	buffer_gl0_inv
	s_barrier
.LBB0_940:                              ;   in Loop: Header=BB0_32 Depth=1
	s_or_b32 exec_lo, exec_lo, s9
.LBB0_941:                              ;   in Loop: Header=BB0_32 Depth=1
	s_delay_alu instid0(SALU_CYCLE_1)
	s_or_b32 exec_lo, exec_lo, s8
	s_and_saveexec_b32 s8, s7
	s_cbranch_execz .LBB0_943
; %bb.942:                              ;   in Loop: Header=BB0_32 Depth=1
	v_add_co_u32 v48, vcc_lo, v48, 1
	v_add_co_ci_u32_e32 v49, vcc_lo, 0, v49, vcc_lo
	s_waitcnt vmcnt(0) lgkmcnt(0)
	s_waitcnt_vscnt null, 0x0
	flat_store_b64 v[36:37], v[48:49]
.LBB0_943:                              ;   in Loop: Header=BB0_32 Depth=1
	s_or_b32 exec_lo, exec_lo, s8
	v_add_co_u32 v9, vcc_lo, v9, v64
	v_add_co_ci_u32_e32 v10, vcc_lo, 0, v10, vcc_lo
	v_add_co_u32 v32, vcc_lo, v32, 1
	v_add_co_ci_u32_e32 v33, vcc_lo, 0, v33, vcc_lo
	s_delay_alu instid0(VALU_DEP_3) | instskip(SKIP_1) | instid1(VALU_DEP_1)
	v_cmp_ge_u64_e32 vcc_lo, v[9:10], v[7:8]
	v_add_co_u32 v5, s8, v5, v64
	v_add_co_ci_u32_e64 v6, s8, 0, v6, s8
	s_or_b32 s16, vcc_lo, s16
	s_delay_alu instid0(SALU_CYCLE_1)
	s_and_not1_b32 exec_lo, exec_lo, s16
	s_cbranch_execnz .LBB0_32
; %bb.944:
	s_or_b32 exec_lo, exec_lo, s16
.LBB0_945:
	s_delay_alu instid0(SALU_CYCLE_1)
	s_or_b32 exec_lo, exec_lo, s12
	s_and_saveexec_b32 s1, s11
	s_cbranch_execz .LBB0_947
; %bb.946:
	s_waitcnt vmcnt(0) lgkmcnt(0)
	flat_store_b64 v[27:28], v[48:49] offset:104
.LBB0_947:
	s_or_b32 exec_lo, exec_lo, s1
	s_and_saveexec_b32 s1, s0
	s_cbranch_execz .LBB0_949
; %bb.948:
	s_waitcnt vmcnt(0) lgkmcnt(0)
	flat_store_b64 v[34:35], v[15:16] offset:104
.LBB0_949:
	s_or_b32 exec_lo, exec_lo, s1
	s_delay_alu instid0(SALU_CYCLE_1)
	s_mov_b32 s0, exec_lo
	v_cmpx_ne_u32_e32 32, v1
	s_cbranch_execz .LBB0_1028
; %bb.950:
	s_mov_b32 s1, exec_lo
	v_cmpx_ne_u32_e64 v0, v1
	s_xor_b32 s1, exec_lo, s1
	s_cbranch_execz .LBB0_1026
; %bb.951:
	v_and_b32_e32 v0, 31, v31
	s_mov_b32 s2, exec_lo
	s_delay_alu instid0(VALU_DEP_1)
	v_cmpx_eq_u32_e32 0, v0
	s_cbranch_execz .LBB0_1025
; %bb.952:
	s_mov_b32 s4, exec_lo
	s_mov_b32 s3, exec_lo
	v_mbcnt_lo_u32_b32 v0, s4, 0
	s_waitcnt vmcnt(0) lgkmcnt(0)
	s_waitcnt_vscnt null, 0x0
	buffer_gl1_inv
	buffer_gl0_inv
	v_cmpx_eq_u32_e32 0, v0
	s_cbranch_execz .LBB0_954
; %bb.953:
	s_bcnt1_i32_b32 s4, s4
	s_delay_alu instid0(SALU_CYCLE_1)
	v_dual_mov_b32 v5, 0 :: v_dual_mov_b32 v4, s4
	ds_add_u64 v0, v[4:5]
	s_cbranch_execnz .LBB0_986
.LBB0_954:
	s_or_b32 exec_lo, exec_lo, s3
	s_cbranch_execnz .LBB0_971
; %bb.955:
	v_ashrrev_i32_e32 v0, 31, v1
	s_mov_b32 s3, exec_lo
	s_delay_alu instid0(VALU_DEP_1) | instskip(NEXT) | instid1(VALU_DEP_1)
	v_lshrrev_b32_e32 v0, 27, v0
	v_add_nc_u32_e32 v0, v1, v0
	ds_load_b64 v[4:5], v0
	v_ashrrev_i32_e32 v0, 5, v0
	s_delay_alu instid0(VALU_DEP_1) | instskip(SKIP_1) | instid1(VALU_DEP_2)
	v_ashrrev_i32_e32 v1, 31, v0
	v_add_co_u32 v0, vcc_lo, v2, v0
	v_add_co_ci_u32_e32 v1, vcc_lo, v3, v1, vcc_lo
	s_waitcnt lgkmcnt(0)
	s_delay_alu instid0(VALU_DEP_1)
	v_cmpx_lt_u64_e64 v[4:5], v[0:1]
	s_cbranch_execz .LBB0_1024
; %bb.956:
	s_mov_b32 s4, 0
	s_mov_b32 s7, 0
                                        ; implicit-def: $sgpr5
                                        ; implicit-def: $sgpr6
	s_branch .LBB0_976
.LBB0_957:
	s_trap 2
	s_sendmsg_rtn_b32 s0, sendmsg(MSG_RTN_GET_DOORBELL)
	s_mov_b32 ttmp2, m0
	s_waitcnt lgkmcnt(0)
	s_and_b32 s0, s0, 0x3ff
	s_delay_alu instid0(SALU_CYCLE_1) | instskip(NEXT) | instid1(SALU_CYCLE_1)
	s_bitset1_b32 s0, 10
	s_mov_b32 m0, s0
	s_sendmsg sendmsg(MSG_INTERRUPT)
	s_mov_b32 m0, ttmp2
.LBB0_958:                              ; =>This Inner Loop Header: Depth=1
	s_sethalt 5
	s_branch .LBB0_958
.LBB0_959:
	s_trap 2
	s_sendmsg_rtn_b32 s0, sendmsg(MSG_RTN_GET_DOORBELL)
	s_mov_b32 ttmp2, m0
	s_waitcnt lgkmcnt(0)
	s_and_b32 s0, s0, 0x3ff
	s_delay_alu instid0(SALU_CYCLE_1) | instskip(NEXT) | instid1(SALU_CYCLE_1)
	s_bitset1_b32 s0, 10
	s_mov_b32 m0, s0
	s_sendmsg sendmsg(MSG_INTERRUPT)
	s_mov_b32 m0, ttmp2
.LBB0_960:                              ; =>This Inner Loop Header: Depth=1
	s_sethalt 5
	s_branch .LBB0_960
.LBB0_961:
	s_trap 2
	s_sendmsg_rtn_b32 s0, sendmsg(MSG_RTN_GET_DOORBELL)
	s_mov_b32 ttmp2, m0
	s_waitcnt lgkmcnt(0)
	s_and_b32 s0, s0, 0x3ff
	s_delay_alu instid0(SALU_CYCLE_1) | instskip(NEXT) | instid1(SALU_CYCLE_1)
	s_bitset1_b32 s0, 10
	s_mov_b32 m0, s0
	s_sendmsg sendmsg(MSG_INTERRUPT)
	s_mov_b32 m0, ttmp2
.LBB0_962:                              ; =>This Inner Loop Header: Depth=1
	s_sethalt 5
	s_branch .LBB0_962
.LBB0_963:
	s_trap 2
	s_sendmsg_rtn_b32 s0, sendmsg(MSG_RTN_GET_DOORBELL)
	s_mov_b32 ttmp2, m0
	s_waitcnt lgkmcnt(0)
	s_and_b32 s0, s0, 0x3ff
	s_delay_alu instid0(SALU_CYCLE_1) | instskip(NEXT) | instid1(SALU_CYCLE_1)
	s_bitset1_b32 s0, 10
	s_mov_b32 m0, s0
	s_sendmsg sendmsg(MSG_INTERRUPT)
	s_mov_b32 m0, ttmp2
.LBB0_964:                              ; =>This Inner Loop Header: Depth=1
	s_sethalt 5
	s_branch .LBB0_964
.LBB0_965:
	s_trap 2
	s_sendmsg_rtn_b32 s0, sendmsg(MSG_RTN_GET_DOORBELL)
	s_mov_b32 ttmp2, m0
	s_waitcnt lgkmcnt(0)
	s_and_b32 s0, s0, 0x3ff
	s_delay_alu instid0(SALU_CYCLE_1) | instskip(NEXT) | instid1(SALU_CYCLE_1)
	s_bitset1_b32 s0, 10
	s_mov_b32 m0, s0
	s_sendmsg sendmsg(MSG_INTERRUPT)
	s_mov_b32 m0, ttmp2
.LBB0_966:                              ; =>This Inner Loop Header: Depth=1
	s_sethalt 5
	s_branch .LBB0_966
.LBB0_967:
	s_trap 2
	s_sendmsg_rtn_b32 s0, sendmsg(MSG_RTN_GET_DOORBELL)
	s_mov_b32 ttmp2, m0
	s_waitcnt lgkmcnt(0)
	s_and_b32 s0, s0, 0x3ff
	s_delay_alu instid0(SALU_CYCLE_1) | instskip(NEXT) | instid1(SALU_CYCLE_1)
	s_bitset1_b32 s0, 10
	s_mov_b32 m0, s0
	s_sendmsg sendmsg(MSG_INTERRUPT)
	s_mov_b32 m0, ttmp2
.LBB0_968:                              ; =>This Inner Loop Header: Depth=1
	s_sethalt 5
	s_branch .LBB0_968
.LBB0_969:
	s_trap 2
	s_sendmsg_rtn_b32 s0, sendmsg(MSG_RTN_GET_DOORBELL)
	s_mov_b32 ttmp2, m0
	s_waitcnt lgkmcnt(0)
	s_and_b32 s0, s0, 0x3ff
	s_delay_alu instid0(SALU_CYCLE_1) | instskip(NEXT) | instid1(SALU_CYCLE_1)
	s_bitset1_b32 s0, 10
	s_mov_b32 m0, s0
	s_sendmsg sendmsg(MSG_INTERRUPT)
	s_mov_b32 m0, ttmp2
.LBB0_970:                              ; =>This Inner Loop Header: Depth=1
	s_sethalt 5
	s_branch .LBB0_970
.LBB0_971:
	s_trap 2
	s_sendmsg_rtn_b32 s0, sendmsg(MSG_RTN_GET_DOORBELL)
	s_mov_b32 ttmp2, m0
	s_waitcnt lgkmcnt(0)
	s_and_b32 s0, s0, 0x3ff
	s_delay_alu instid0(SALU_CYCLE_1) | instskip(NEXT) | instid1(SALU_CYCLE_1)
	s_bitset1_b32 s0, 10
	s_mov_b32 m0, s0
	s_sendmsg sendmsg(MSG_INTERRUPT)
	s_mov_b32 m0, ttmp2
.LBB0_972:                              ; =>This Inner Loop Header: Depth=1
	s_sethalt 5
	s_branch .LBB0_972
.LBB0_973:
	s_trap 2
	s_sendmsg_rtn_b32 s0, sendmsg(MSG_RTN_GET_DOORBELL)
	s_mov_b32 ttmp2, m0
	s_waitcnt lgkmcnt(0)
	s_and_b32 s0, s0, 0x3ff
	s_delay_alu instid0(SALU_CYCLE_1) | instskip(NEXT) | instid1(SALU_CYCLE_1)
	s_bitset1_b32 s0, 10
	s_mov_b32 m0, s0
	s_sendmsg sendmsg(MSG_INTERRUPT)
	s_mov_b32 m0, ttmp2
.LBB0_974:                              ; =>This Inner Loop Header: Depth=1
	s_sethalt 5
	s_branch .LBB0_974
.LBB0_975:                              ;   in Loop: Header=BB0_976 Depth=1
	s_or_b32 exec_lo, exec_lo, s10
	s_delay_alu instid0(SALU_CYCLE_1) | instskip(NEXT) | instid1(SALU_CYCLE_1)
	s_and_b32 s8, exec_lo, s9
	s_or_b32 s4, s8, s4
	s_and_not1_b32 s5, s5, exec_lo
	s_and_b32 s8, s6, exec_lo
	s_delay_alu instid0(SALU_CYCLE_1)
	s_or_b32 s5, s5, s8
	s_and_not1_b32 exec_lo, exec_lo, s4
	s_cbranch_execz .LBB0_1022
.LBB0_976:                              ; =>This Inner Loop Header: Depth=1
	s_add_i32 s7, s7, 1
                                        ; implicit-def: $sgpr9
	s_delay_alu instid0(SALU_CYCLE_1) | instskip(SKIP_1) | instid1(SALU_CYCLE_1)
	s_cmpk_lg_i32 s7, 0x2710
	s_cselect_b32 s8, -1, 0
	s_and_b32 vcc_lo, exec_lo, s8
	s_cbranch_vccz .LBB0_980
.LBB0_977:                              ;   in Loop: Header=BB0_976 Depth=1
	s_and_not1_b32 s6, s6, exec_lo
	s_and_b32 s10, s9, exec_lo
	s_mov_b32 s9, -1
	s_or_b32 s6, s6, s10
	s_and_saveexec_b32 s10, s8
	s_cbranch_execz .LBB0_975
; %bb.978:                              ;   in Loop: Header=BB0_976 Depth=1
	s_sleep 1
	s_cbranch_execnz .LBB0_1000
; %bb.979:                              ;   in Loop: Header=BB0_976 Depth=1
	ds_load_b64 v[2:3], v0
	s_and_not1_b32 s6, s6, exec_lo
	s_waitcnt lgkmcnt(0)
	v_cmp_ge_u64_e32 vcc_lo, v[2:3], v[0:1]
	s_or_not1_b32 s9, vcc_lo, exec_lo
	s_branch .LBB0_975
.LBB0_980:                              ;   in Loop: Header=BB0_976 Depth=1
	s_cbranch_execnz .LBB0_1006
; %bb.981:                              ;   in Loop: Header=BB0_976 Depth=1
	ds_load_b64 v[2:3], v0
	s_and_not1_b32 s8, s8, exec_lo
	s_mov_b32 s7, 0
	s_mov_b32 s9, -1
	s_waitcnt lgkmcnt(0)
	flat_load_b32 v2, v[2:3] glc
	s_waitcnt vmcnt(0) lgkmcnt(0)
	buffer_gl1_inv
	buffer_gl0_inv
	v_cmp_eq_u32_e32 vcc_lo, 0, v2
	s_and_b32 s10, vcc_lo, exec_lo
	s_delay_alu instid0(SALU_CYCLE_1)
	s_or_b32 s8, s8, s10
	s_branch .LBB0_977
.LBB0_982:
	s_trap 2
	s_sendmsg_rtn_b32 s0, sendmsg(MSG_RTN_GET_DOORBELL)
	s_mov_b32 ttmp2, m0
	s_waitcnt lgkmcnt(0)
	s_and_b32 s0, s0, 0x3ff
	s_delay_alu instid0(SALU_CYCLE_1) | instskip(NEXT) | instid1(SALU_CYCLE_1)
	s_bitset1_b32 s0, 10
	s_mov_b32 m0, s0
	s_sendmsg sendmsg(MSG_INTERRUPT)
	s_mov_b32 m0, ttmp2
.LBB0_983:                              ; =>This Inner Loop Header: Depth=1
	s_sethalt 5
	s_branch .LBB0_983
.LBB0_984:
	s_trap 2
	s_sendmsg_rtn_b32 s0, sendmsg(MSG_RTN_GET_DOORBELL)
	s_mov_b32 ttmp2, m0
	s_waitcnt lgkmcnt(0)
	s_and_b32 s0, s0, 0x3ff
	s_delay_alu instid0(SALU_CYCLE_1) | instskip(NEXT) | instid1(SALU_CYCLE_1)
	s_bitset1_b32 s0, 10
	s_mov_b32 m0, s0
	s_sendmsg sendmsg(MSG_INTERRUPT)
	s_mov_b32 m0, ttmp2
.LBB0_985:                              ; =>This Inner Loop Header: Depth=1
	s_sethalt 5
	s_branch .LBB0_985
.LBB0_986:
	s_trap 2
	s_sendmsg_rtn_b32 s0, sendmsg(MSG_RTN_GET_DOORBELL)
	s_mov_b32 ttmp2, m0
	s_waitcnt lgkmcnt(0)
	s_and_b32 s0, s0, 0x3ff
	s_delay_alu instid0(SALU_CYCLE_1) | instskip(NEXT) | instid1(SALU_CYCLE_1)
	s_bitset1_b32 s0, 10
	s_mov_b32 m0, s0
	s_sendmsg sendmsg(MSG_INTERRUPT)
	s_mov_b32 m0, ttmp2
.LBB0_987:                              ; =>This Inner Loop Header: Depth=1
	s_sethalt 5
	s_branch .LBB0_987
.LBB0_988:
	s_trap 2
	s_sendmsg_rtn_b32 s0, sendmsg(MSG_RTN_GET_DOORBELL)
	s_mov_b32 ttmp2, m0
	s_waitcnt lgkmcnt(0)
	s_and_b32 s0, s0, 0x3ff
	s_delay_alu instid0(SALU_CYCLE_1) | instskip(NEXT) | instid1(SALU_CYCLE_1)
	s_bitset1_b32 s0, 10
	s_mov_b32 m0, s0
	s_sendmsg sendmsg(MSG_INTERRUPT)
	s_mov_b32 m0, ttmp2
.LBB0_989:                              ; =>This Inner Loop Header: Depth=1
	s_sethalt 5
	s_branch .LBB0_989
.LBB0_990:
	s_trap 2
	s_sendmsg_rtn_b32 s0, sendmsg(MSG_RTN_GET_DOORBELL)
	s_mov_b32 ttmp2, m0
	s_waitcnt lgkmcnt(0)
	s_and_b32 s0, s0, 0x3ff
	s_delay_alu instid0(SALU_CYCLE_1) | instskip(NEXT) | instid1(SALU_CYCLE_1)
	s_bitset1_b32 s0, 10
	s_mov_b32 m0, s0
	s_sendmsg sendmsg(MSG_INTERRUPT)
	s_mov_b32 m0, ttmp2
.LBB0_991:                              ; =>This Inner Loop Header: Depth=1
	s_sethalt 5
	s_branch .LBB0_991
.LBB0_992:
	s_trap 2
	s_sendmsg_rtn_b32 s0, sendmsg(MSG_RTN_GET_DOORBELL)
	s_mov_b32 ttmp2, m0
	s_waitcnt lgkmcnt(0)
	s_and_b32 s0, s0, 0x3ff
	s_delay_alu instid0(SALU_CYCLE_1) | instskip(NEXT) | instid1(SALU_CYCLE_1)
	s_bitset1_b32 s0, 10
	s_mov_b32 m0, s0
	s_sendmsg sendmsg(MSG_INTERRUPT)
	s_mov_b32 m0, ttmp2
.LBB0_993:                              ; =>This Inner Loop Header: Depth=1
	s_sethalt 5
	s_branch .LBB0_993
.LBB0_994:
	s_trap 2
	s_sendmsg_rtn_b32 s0, sendmsg(MSG_RTN_GET_DOORBELL)
	s_mov_b32 ttmp2, m0
	s_waitcnt lgkmcnt(0)
	s_and_b32 s0, s0, 0x3ff
	s_delay_alu instid0(SALU_CYCLE_1) | instskip(NEXT) | instid1(SALU_CYCLE_1)
	s_bitset1_b32 s0, 10
	s_mov_b32 m0, s0
	s_sendmsg sendmsg(MSG_INTERRUPT)
	s_mov_b32 m0, ttmp2
.LBB0_995:                              ; =>This Inner Loop Header: Depth=1
	s_sethalt 5
	s_branch .LBB0_995
.LBB0_996:
	s_trap 2
	s_sendmsg_rtn_b32 s0, sendmsg(MSG_RTN_GET_DOORBELL)
	s_mov_b32 ttmp2, m0
	s_waitcnt lgkmcnt(0)
	s_and_b32 s0, s0, 0x3ff
	s_delay_alu instid0(SALU_CYCLE_1) | instskip(NEXT) | instid1(SALU_CYCLE_1)
	s_bitset1_b32 s0, 10
	s_mov_b32 m0, s0
	s_sendmsg sendmsg(MSG_INTERRUPT)
	s_mov_b32 m0, ttmp2
.LBB0_997:                              ; =>This Inner Loop Header: Depth=1
	s_sethalt 5
	s_branch .LBB0_997
.LBB0_998:
	s_trap 2
	s_sendmsg_rtn_b32 s0, sendmsg(MSG_RTN_GET_DOORBELL)
	s_mov_b32 ttmp2, m0
	s_waitcnt lgkmcnt(0)
	s_and_b32 s0, s0, 0x3ff
	s_delay_alu instid0(SALU_CYCLE_1) | instskip(NEXT) | instid1(SALU_CYCLE_1)
	s_bitset1_b32 s0, 10
	s_mov_b32 m0, s0
	s_sendmsg sendmsg(MSG_INTERRUPT)
	s_mov_b32 m0, ttmp2
.LBB0_999:                              ; =>This Inner Loop Header: Depth=1
	s_sethalt 5
	s_branch .LBB0_999
.LBB0_1000:
	s_trap 2
	s_sendmsg_rtn_b32 s0, sendmsg(MSG_RTN_GET_DOORBELL)
	s_mov_b32 ttmp2, m0
	s_waitcnt lgkmcnt(0)
	s_and_b32 s0, s0, 0x3ff
	s_delay_alu instid0(SALU_CYCLE_1) | instskip(NEXT) | instid1(SALU_CYCLE_1)
	s_bitset1_b32 s0, 10
	s_mov_b32 m0, s0
	s_sendmsg sendmsg(MSG_INTERRUPT)
	s_mov_b32 m0, ttmp2
.LBB0_1001:                             ; =>This Inner Loop Header: Depth=1
	s_sethalt 5
	s_branch .LBB0_1001
.LBB0_1002:
	s_trap 2
	s_sendmsg_rtn_b32 s0, sendmsg(MSG_RTN_GET_DOORBELL)
	s_mov_b32 ttmp2, m0
	s_waitcnt lgkmcnt(0)
	s_and_b32 s0, s0, 0x3ff
	s_delay_alu instid0(SALU_CYCLE_1) | instskip(NEXT) | instid1(SALU_CYCLE_1)
	s_bitset1_b32 s0, 10
	s_mov_b32 m0, s0
	s_sendmsg sendmsg(MSG_INTERRUPT)
	s_mov_b32 m0, ttmp2
.LBB0_1003:                             ; =>This Inner Loop Header: Depth=1
	s_sethalt 5
	s_branch .LBB0_1003
.LBB0_1004:
	s_trap 2
	s_sendmsg_rtn_b32 s0, sendmsg(MSG_RTN_GET_DOORBELL)
	s_mov_b32 ttmp2, m0
	s_waitcnt lgkmcnt(0)
	s_and_b32 s0, s0, 0x3ff
	s_delay_alu instid0(SALU_CYCLE_1) | instskip(NEXT) | instid1(SALU_CYCLE_1)
	s_bitset1_b32 s0, 10
	s_mov_b32 m0, s0
	s_sendmsg sendmsg(MSG_INTERRUPT)
	s_mov_b32 m0, ttmp2
.LBB0_1005:                             ; =>This Inner Loop Header: Depth=1
	s_sethalt 5
	s_branch .LBB0_1005
.LBB0_1006:
	s_trap 2
	s_sendmsg_rtn_b32 s0, sendmsg(MSG_RTN_GET_DOORBELL)
	s_mov_b32 ttmp2, m0
	s_waitcnt lgkmcnt(0)
	s_and_b32 s0, s0, 0x3ff
	s_delay_alu instid0(SALU_CYCLE_1) | instskip(NEXT) | instid1(SALU_CYCLE_1)
	s_bitset1_b32 s0, 10
	s_mov_b32 m0, s0
	s_sendmsg sendmsg(MSG_INTERRUPT)
	s_mov_b32 m0, ttmp2
.LBB0_1007:                             ; =>This Inner Loop Header: Depth=1
	s_sethalt 5
	s_branch .LBB0_1007
.LBB0_1008:
	s_trap 2
	s_sendmsg_rtn_b32 s0, sendmsg(MSG_RTN_GET_DOORBELL)
	s_mov_b32 ttmp2, m0
	s_waitcnt lgkmcnt(0)
	s_and_b32 s0, s0, 0x3ff
	s_delay_alu instid0(SALU_CYCLE_1) | instskip(NEXT) | instid1(SALU_CYCLE_1)
	s_bitset1_b32 s0, 10
	s_mov_b32 m0, s0
	s_sendmsg sendmsg(MSG_INTERRUPT)
	s_mov_b32 m0, ttmp2
.LBB0_1009:                             ; =>This Inner Loop Header: Depth=1
	s_sethalt 5
	s_branch .LBB0_1009
.LBB0_1010:
	s_trap 2
	s_sendmsg_rtn_b32 s0, sendmsg(MSG_RTN_GET_DOORBELL)
	s_mov_b32 ttmp2, m0
	s_waitcnt lgkmcnt(0)
	s_and_b32 s0, s0, 0x3ff
	s_delay_alu instid0(SALU_CYCLE_1) | instskip(NEXT) | instid1(SALU_CYCLE_1)
	s_bitset1_b32 s0, 10
	s_mov_b32 m0, s0
	s_sendmsg sendmsg(MSG_INTERRUPT)
	s_mov_b32 m0, ttmp2
.LBB0_1011:                             ; =>This Inner Loop Header: Depth=1
	s_sethalt 5
	s_branch .LBB0_1011
.LBB0_1012:
	s_trap 2
	s_sendmsg_rtn_b32 s0, sendmsg(MSG_RTN_GET_DOORBELL)
	s_mov_b32 ttmp2, m0
	s_waitcnt lgkmcnt(0)
	s_and_b32 s0, s0, 0x3ff
	s_delay_alu instid0(SALU_CYCLE_1) | instskip(NEXT) | instid1(SALU_CYCLE_1)
	s_bitset1_b32 s0, 10
	s_mov_b32 m0, s0
	s_sendmsg sendmsg(MSG_INTERRUPT)
	s_mov_b32 m0, ttmp2
.LBB0_1013:                             ; =>This Inner Loop Header: Depth=1
	s_sethalt 5
	s_branch .LBB0_1013
.LBB0_1014:
	s_trap 2
	s_sendmsg_rtn_b32 s0, sendmsg(MSG_RTN_GET_DOORBELL)
	s_mov_b32 ttmp2, m0
	s_waitcnt lgkmcnt(0)
	s_and_b32 s0, s0, 0x3ff
	s_delay_alu instid0(SALU_CYCLE_1) | instskip(NEXT) | instid1(SALU_CYCLE_1)
	s_bitset1_b32 s0, 10
	s_mov_b32 m0, s0
	s_sendmsg sendmsg(MSG_INTERRUPT)
	s_mov_b32 m0, ttmp2
.LBB0_1015:                             ; =>This Inner Loop Header: Depth=1
	s_sethalt 5
	s_branch .LBB0_1015
.LBB0_1016:
	s_trap 2
	s_sendmsg_rtn_b32 s0, sendmsg(MSG_RTN_GET_DOORBELL)
	s_mov_b32 ttmp2, m0
	s_waitcnt lgkmcnt(0)
	s_and_b32 s0, s0, 0x3ff
	s_delay_alu instid0(SALU_CYCLE_1) | instskip(NEXT) | instid1(SALU_CYCLE_1)
	s_bitset1_b32 s0, 10
	s_mov_b32 m0, s0
	s_sendmsg sendmsg(MSG_INTERRUPT)
	s_mov_b32 m0, ttmp2
.LBB0_1017:                             ; =>This Inner Loop Header: Depth=1
	s_sethalt 5
	s_branch .LBB0_1017
.LBB0_1018:
	s_trap 2
	s_sendmsg_rtn_b32 s0, sendmsg(MSG_RTN_GET_DOORBELL)
	s_mov_b32 ttmp2, m0
	s_waitcnt lgkmcnt(0)
	s_and_b32 s0, s0, 0x3ff
	s_delay_alu instid0(SALU_CYCLE_1) | instskip(NEXT) | instid1(SALU_CYCLE_1)
	s_bitset1_b32 s0, 10
	s_mov_b32 m0, s0
	s_sendmsg sendmsg(MSG_INTERRUPT)
	s_mov_b32 m0, ttmp2
.LBB0_1019:                             ; =>This Inner Loop Header: Depth=1
	s_sethalt 5
	s_branch .LBB0_1019
.LBB0_1020:
	s_trap 2
	s_sendmsg_rtn_b32 s0, sendmsg(MSG_RTN_GET_DOORBELL)
	s_mov_b32 ttmp2, m0
	s_waitcnt lgkmcnt(0)
	s_and_b32 s0, s0, 0x3ff
	s_delay_alu instid0(SALU_CYCLE_1) | instskip(NEXT) | instid1(SALU_CYCLE_1)
	s_bitset1_b32 s0, 10
	s_mov_b32 m0, s0
	s_sendmsg sendmsg(MSG_INTERRUPT)
	s_mov_b32 m0, ttmp2
.LBB0_1021:                             ; =>This Inner Loop Header: Depth=1
	s_sethalt 5
	s_branch .LBB0_1021
.LBB0_1022:
	s_or_b32 exec_lo, exec_lo, s4
	s_and_saveexec_b32 s4, s5
	s_delay_alu instid0(SALU_CYCLE_1)
	s_xor_b32 s4, exec_lo, s4
	s_cbranch_execz .LBB0_1024
; %bb.1023:
	v_mov_b32_e32 v0, 1
	ds_store_b32 v0, v0
	s_cbranch_execnz .LBB0_1031
.LBB0_1024:
	s_or_b32 exec_lo, exec_lo, s3
	;;#ASMSTART
	s_wakeup
	;;#ASMEND
.LBB0_1025:
	s_or_b32 exec_lo, exec_lo, s2
.LBB0_1026:
	s_and_not1_saveexec_b32 s1, s1
	s_cbranch_execz .LBB0_1028
; %bb.1027:
	s_waitcnt vmcnt(0) lgkmcnt(0)
	s_waitcnt_vscnt null, 0x0
	buffer_gl1_inv
	buffer_gl0_inv
	s_barrier
.LBB0_1028:
	s_or_b32 exec_lo, exec_lo, s0
	s_waitcnt vmcnt(0) lgkmcnt(0)
	s_setpc_b64 s[30:31]
.LBB0_1029:
	s_trap 2
	s_sendmsg_rtn_b32 s0, sendmsg(MSG_RTN_GET_DOORBELL)
	s_mov_b32 ttmp2, m0
	s_waitcnt lgkmcnt(0)
	s_and_b32 s0, s0, 0x3ff
	s_delay_alu instid0(SALU_CYCLE_1) | instskip(NEXT) | instid1(SALU_CYCLE_1)
	s_bitset1_b32 s0, 10
	s_mov_b32 m0, s0
	s_sendmsg sendmsg(MSG_INTERRUPT)
	s_mov_b32 m0, ttmp2
.LBB0_1030:                             ; =>This Inner Loop Header: Depth=1
	s_sethalt 5
	s_branch .LBB0_1030
.LBB0_1031:
	s_trap 2
	s_sendmsg_rtn_b32 s0, sendmsg(MSG_RTN_GET_DOORBELL)
	s_mov_b32 ttmp2, m0
	s_waitcnt lgkmcnt(0)
	s_and_b32 s0, s0, 0x3ff
	s_delay_alu instid0(SALU_CYCLE_1) | instskip(NEXT) | instid1(SALU_CYCLE_1)
	s_bitset1_b32 s0, 10
	s_mov_b32 m0, s0
	s_sendmsg sendmsg(MSG_INTERRUPT)
	s_mov_b32 m0, ttmp2
.LBB0_1032:                             ; =>This Inner Loop Header: Depth=1
	s_sethalt 5
	s_branch .LBB0_1032
.LBB0_1033:
	s_trap 2
	s_sendmsg_rtn_b32 s0, sendmsg(MSG_RTN_GET_DOORBELL)
	s_mov_b32 ttmp2, m0
	s_waitcnt lgkmcnt(0)
	s_and_b32 s0, s0, 0x3ff
	s_delay_alu instid0(SALU_CYCLE_1) | instskip(NEXT) | instid1(SALU_CYCLE_1)
	s_bitset1_b32 s0, 10
	s_mov_b32 m0, s0
	s_sendmsg sendmsg(MSG_INTERRUPT)
	s_mov_b32 m0, ttmp2
.LBB0_1034:                             ; =>This Inner Loop Header: Depth=1
	s_sethalt 5
	s_branch .LBB0_1034
.LBB0_1035:
	s_trap 2
	s_sendmsg_rtn_b32 s0, sendmsg(MSG_RTN_GET_DOORBELL)
	s_mov_b32 ttmp2, m0
	s_waitcnt lgkmcnt(0)
	s_and_b32 s0, s0, 0x3ff
	s_delay_alu instid0(SALU_CYCLE_1) | instskip(NEXT) | instid1(SALU_CYCLE_1)
	s_bitset1_b32 s0, 10
	s_mov_b32 m0, s0
	s_sendmsg sendmsg(MSG_INTERRUPT)
	s_mov_b32 m0, ttmp2
.LBB0_1036:                             ; =>This Inner Loop Header: Depth=1
	s_sethalt 5
	s_branch .LBB0_1036
.LBB0_1037:
	s_trap 2
	s_sendmsg_rtn_b32 s0, sendmsg(MSG_RTN_GET_DOORBELL)
	s_mov_b32 ttmp2, m0
	s_waitcnt lgkmcnt(0)
	s_and_b32 s0, s0, 0x3ff
	s_delay_alu instid0(SALU_CYCLE_1) | instskip(NEXT) | instid1(SALU_CYCLE_1)
	s_bitset1_b32 s0, 10
	s_mov_b32 m0, s0
	s_sendmsg sendmsg(MSG_INTERRUPT)
	s_mov_b32 m0, ttmp2
.LBB0_1038:                             ; =>This Inner Loop Header: Depth=1
	s_sethalt 5
	s_branch .LBB0_1038
.Lfunc_end0:
	.size	_ZN12_GLOBAL__N_17runRingI12rccl_bfloat810FuncMinMaxIS1_E7ProtoLLLi0ELi1ELi0EEEviiP15ncclDevWorkColl, .Lfunc_end0-_ZN12_GLOBAL__N_17runRingI12rccl_bfloat810FuncMinMaxIS1_E7ProtoLLLi0ELi1ELi0EEEviiP15ncclDevWorkColl
                                        ; -- End function
	.section	.AMDGPU.csdata,"",@progbits
; Function info:
; codeLenInByte = 35184
; NumSgprs: 34
; NumVgprs: 166
; ScratchSize: 0
; MemoryBound: 0
	.text
	.p2align	2                               ; -- Begin function _Z53ncclDevFunc_ReduceScatter_RING_LL_MinMax_f8e5m2_0_0_1v
	.type	_Z53ncclDevFunc_ReduceScatter_RING_LL_MinMax_f8e5m2_0_0_1v,@function
_Z53ncclDevFunc_ReduceScatter_RING_LL_MinMax_f8e5m2_0_0_1v: ; @_Z53ncclDevFunc_ReduceScatter_RING_LL_MinMax_f8e5m2_0_0_1v
; %bb.0:
	s_waitcnt vmcnt(0) expcnt(0) lgkmcnt(0)
	s_mov_b32 s0, s33
	s_mov_b32 s33, s32
	s_or_saveexec_b32 s1, -1
	scratch_store_b32 off, v40, s33         ; 4-byte Folded Spill
	s_mov_b32 exec_lo, s1
	v_writelane_b32 v40, s0, 6
	s_add_i32 s32, s32, 16
	v_writelane_b32 v40, s34, 0
	v_writelane_b32 v40, s35, 1
	;; [unrolled: 1-line block ×6, first 2 shown]
	s_cbranch_execnz .LBB1_7
; %bb.1:
	ds_load_b32 v0, v0
	v_and_b32_e32 v166, 0x3ff, v31
	s_mov_b32 s0, exec_lo
	s_waitcnt lgkmcnt(0)
	s_delay_alu instid0(VALU_DEP_1)
	v_cmpx_lt_i32_e64 v166, v0
	s_cbranch_execz .LBB1_9
; %bb.2:
	s_load_b32 s1, s[8:9], 0x0
	v_mov_b32_e32 v1, 0
	s_waitcnt lgkmcnt(0)
	s_cmp_lt_u32 s12, s1
	s_cselect_b32 s1, 12, 18
	s_delay_alu instid0(SALU_CYCLE_1)
	s_add_u32 s2, s8, s1
	s_addc_u32 s3, s9, 0
	s_mov_b32 s1, 0
	global_load_u16 v1, v1, s[2:3]
	s_cbranch_execnz .LBB1_24
; %bb.3:
	ds_load_b32 v2, v0
	v_mov_b32_e32 v3, v166
	s_mov_b32 s2, 0
                                        ; implicit-def: $vgpr4
	s_waitcnt vmcnt(0) lgkmcnt(0)
	v_mul_lo_u32 v2, v2, v1
	s_branch .LBB1_5
	.p2align	6
.LBB1_4:                                ;   in Loop: Header=BB1_5 Depth=1
	s_or_b32 exec_lo, exec_lo, s3
	v_add_nc_u32_e32 v3, v3, v1
	v_add_nc_u32_e32 v4, v4, v2
	s_delay_alu instid0(VALU_DEP_2) | instskip(SKIP_1) | instid1(SALU_CYCLE_1)
	v_cmp_ge_i32_e32 vcc_lo, v3, v0
	s_or_b32 s1, vcc_lo, s1
	s_and_not1_b32 exec_lo, exec_lo, s1
	s_cbranch_execz .LBB1_9
.LBB1_5:                                ; =>This Inner Loop Header: Depth=1
	ds_load_b32 v5, v4
	s_mov_b32 s3, exec_lo
	s_waitcnt lgkmcnt(0)
	v_and_b32_e32 v5, 0x1000000, v5
	s_delay_alu instid0(VALU_DEP_1)
	v_cmpx_ne_u32_e32 0, v5
	s_cbranch_execz .LBB1_4
; %bb.6:                                ;   in Loop: Header=BB1_5 Depth=1
	ds_load_b64 v[5:6], v4 offset:104
	s_waitcnt lgkmcnt(0)
	flat_load_u8 v5, v[5:6]
	s_waitcnt vmcnt(0) lgkmcnt(0)
	v_dual_mov_b32 v6, s2 :: v_dual_and_b32 v5, 0xffff, v5
	ds_store_b64 v4, v[5:6] offset:104
	s_branch .LBB1_4
.LBB1_7:
	s_trap 2
	s_sendmsg_rtn_b32 s0, sendmsg(MSG_RTN_GET_DOORBELL)
	s_mov_b32 ttmp2, m0
	s_waitcnt lgkmcnt(0)
	s_and_b32 s0, s0, 0x3ff
	s_delay_alu instid0(SALU_CYCLE_1) | instskip(NEXT) | instid1(SALU_CYCLE_1)
	s_bitset1_b32 s0, 10
	s_mov_b32 m0, s0
	s_sendmsg sendmsg(MSG_INTERRUPT)
	s_mov_b32 m0, ttmp2
.LBB1_8:                                ; =>This Inner Loop Header: Depth=1
	s_sethalt 5
	s_branch .LBB1_8
.LBB1_9:
	s_or_b32 exec_lo, exec_lo, s0
	s_waitcnt lgkmcnt(0)
	s_waitcnt_vscnt null, 0x0
	s_barrier
	buffer_gl0_inv
	s_cbranch_execnz .LBB1_22
; %bb.10:
	ds_load_b32 v0, v0
	s_waitcnt lgkmcnt(0)
	v_cmp_gt_i32_e32 vcc_lo, 1, v0
	s_cbranch_vccnz .LBB1_21
; %bb.11:
	s_mov_b32 s36, 0
	s_mov_b64 s[34:35], src_shared_base
.LBB1_12:                               ; =>This Inner Loop Header: Depth=1
	s_cbranch_execnz .LBB1_26
; %bb.13:                               ;   in Loop: Header=BB1_12 Depth=1
	ds_load_b32 v0, v0
	s_cmp_eq_u32 s36, 0
	s_cbranch_scc1 .LBB1_17
; %bb.14:                               ;   in Loop: Header=BB1_12 Depth=1
	s_cbranch_execnz .LBB1_30
; %bb.15:                               ;   in Loop: Header=BB1_12 Depth=1
	s_waitcnt lgkmcnt(0)
	ds_load_b32 v1, v0
	s_waitcnt lgkmcnt(0)
	v_xor_b32_e32 v1, v1, v0
	s_delay_alu instid0(VALU_DEP_1) | instskip(NEXT) | instid1(VALU_DEP_1)
	v_and_b32_e32 v1, 0xff0000, v1
	v_cmp_eq_u32_e32 vcc_lo, 0, v1
	s_cbranch_vccnz .LBB1_17
; %bb.16:                               ;   in Loop: Header=BB1_12 Depth=1
	s_waitcnt_vscnt null, 0x0
	s_barrier
	buffer_gl0_inv
	ds_load_b32 v0, v0
.LBB1_17:                               ;   in Loop: Header=BB1_12 Depth=1
	s_waitcnt lgkmcnt(0)
	v_lshrrev_b32_e32 v0, 11, v0
	s_mov_b32 s37, exec_lo
	s_delay_alu instid0(VALU_DEP_1) | instskip(NEXT) | instid1(VALU_DEP_1)
	v_and_b32_e32 v1, 0x1fe0, v0
	v_cmpx_lt_u32_e64 v166, v1
	s_cbranch_execz .LBB1_19
; %bb.18:                               ;   in Loop: Header=BB1_12 Depth=1
	v_dual_mov_b32 v0, v166 :: v_dual_mov_b32 v3, s35
	s_getpc_b64 s[0:1]
	s_add_u32 s0, s0, _ZN12_GLOBAL__N_17runRingI12rccl_bfloat810FuncMinMaxIS1_E7ProtoLLLi0ELi1ELi0EEEviiP15ncclDevWorkColl@rel32@lo+4
	s_addc_u32 s1, s1, _ZN12_GLOBAL__N_17runRingI12rccl_bfloat810FuncMinMaxIS1_E7ProtoLLLi0ELi1ELi0EEEviiP15ncclDevWorkColl@rel32@hi+12
	s_mov_b64 s[28:29], s[8:9]
	s_mov_b32 s34, s12
	s_swappc_b64 s[30:31], s[0:1]
	s_mov_b32 s12, s34
	s_mov_b64 s[8:9], s[28:29]
.LBB1_19:                               ;   in Loop: Header=BB1_12 Depth=1
	s_or_b32 exec_lo, exec_lo, s37
	s_cbranch_execnz .LBB1_28
; %bb.20:                               ;   in Loop: Header=BB1_12 Depth=1
	ds_load_b32 v0, v0
	s_add_i32 s36, s36, 1
	s_waitcnt lgkmcnt(0)
	v_cmp_lt_i32_e32 vcc_lo, s36, v0
	s_cbranch_vccnz .LBB1_12
.LBB1_21:
	v_readlane_b32 s30, v40, 4
	v_readlane_b32 s31, v40, 5
	;; [unrolled: 1-line block ×7, first 2 shown]
	s_or_saveexec_b32 s1, -1
	scratch_load_b32 v40, off, s33          ; 4-byte Folded Reload
	s_mov_b32 exec_lo, s1
	s_add_i32 s32, s32, -16
	s_mov_b32 s33, s0
	s_waitcnt vmcnt(0)
	s_setpc_b64 s[30:31]
.LBB1_22:
	s_trap 2
	s_sendmsg_rtn_b32 s0, sendmsg(MSG_RTN_GET_DOORBELL)
	s_mov_b32 ttmp2, m0
	s_waitcnt lgkmcnt(0)
	s_and_b32 s0, s0, 0x3ff
	s_delay_alu instid0(SALU_CYCLE_1) | instskip(NEXT) | instid1(SALU_CYCLE_1)
	s_bitset1_b32 s0, 10
	s_mov_b32 m0, s0
	s_sendmsg sendmsg(MSG_INTERRUPT)
	s_mov_b32 m0, ttmp2
.LBB1_23:                               ; =>This Inner Loop Header: Depth=1
	s_sethalt 5
	s_branch .LBB1_23
.LBB1_24:
	s_trap 2
	s_sendmsg_rtn_b32 s0, sendmsg(MSG_RTN_GET_DOORBELL)
	s_mov_b32 ttmp2, m0
	s_waitcnt lgkmcnt(0)
	s_and_b32 s0, s0, 0x3ff
	s_delay_alu instid0(SALU_CYCLE_1) | instskip(NEXT) | instid1(SALU_CYCLE_1)
	s_bitset1_b32 s0, 10
	s_mov_b32 m0, s0
	s_sendmsg sendmsg(MSG_INTERRUPT)
	s_mov_b32 m0, ttmp2
.LBB1_25:                               ; =>This Inner Loop Header: Depth=1
	s_sethalt 5
	s_branch .LBB1_25
.LBB1_26:
	s_trap 2
	s_sendmsg_rtn_b32 s0, sendmsg(MSG_RTN_GET_DOORBELL)
	s_mov_b32 ttmp2, m0
	s_waitcnt lgkmcnt(0)
	s_and_b32 s0, s0, 0x3ff
	s_delay_alu instid0(SALU_CYCLE_1) | instskip(NEXT) | instid1(SALU_CYCLE_1)
	s_bitset1_b32 s0, 10
	s_mov_b32 m0, s0
	s_sendmsg sendmsg(MSG_INTERRUPT)
	s_mov_b32 m0, ttmp2
.LBB1_27:                               ; =>This Inner Loop Header: Depth=1
	s_sethalt 5
	s_branch .LBB1_27
.LBB1_28:
	s_trap 2
	s_sendmsg_rtn_b32 s0, sendmsg(MSG_RTN_GET_DOORBELL)
	s_mov_b32 ttmp2, m0
	s_waitcnt lgkmcnt(0)
	s_and_b32 s0, s0, 0x3ff
	s_delay_alu instid0(SALU_CYCLE_1) | instskip(NEXT) | instid1(SALU_CYCLE_1)
	s_bitset1_b32 s0, 10
	s_mov_b32 m0, s0
	s_sendmsg sendmsg(MSG_INTERRUPT)
	s_mov_b32 m0, ttmp2
.LBB1_29:                               ; =>This Inner Loop Header: Depth=1
	s_sethalt 5
	s_branch .LBB1_29
.LBB1_30:
	s_trap 2
	s_sendmsg_rtn_b32 s0, sendmsg(MSG_RTN_GET_DOORBELL)
	s_mov_b32 ttmp2, m0
	s_waitcnt lgkmcnt(0)
	s_and_b32 s0, s0, 0x3ff
	s_delay_alu instid0(SALU_CYCLE_1) | instskip(NEXT) | instid1(SALU_CYCLE_1)
	s_bitset1_b32 s0, 10
	s_mov_b32 m0, s0
	s_sendmsg sendmsg(MSG_INTERRUPT)
	s_mov_b32 m0, ttmp2
.LBB1_31:                               ; =>This Inner Loop Header: Depth=1
	s_sethalt 5
	s_branch .LBB1_31
.Lfunc_end1:
	.size	_Z53ncclDevFunc_ReduceScatter_RING_LL_MinMax_f8e5m2_0_0_1v, .Lfunc_end1-_Z53ncclDevFunc_ReduceScatter_RING_LL_MinMax_f8e5m2_0_0_1v
                                        ; -- End function
	.section	.AMDGPU.csdata,"",@progbits
; Function info:
; codeLenInByte = 992
; NumSgprs: 40
; NumVgprs: 167
; ScratchSize: 16
; MemoryBound: 0
	.text
	.p2align	2                               ; -- Begin function _ZN12_GLOBAL__N_17runRingI12rccl_bfloat810FuncMinMaxIS1_E7ProtoLLLi0ELi2ELi0EEEviiP15ncclDevWorkColl
	.type	_ZN12_GLOBAL__N_17runRingI12rccl_bfloat810FuncMinMaxIS1_E7ProtoLLLi0ELi2ELi0EEEviiP15ncclDevWorkColl,@function
_ZN12_GLOBAL__N_17runRingI12rccl_bfloat810FuncMinMaxIS1_E7ProtoLLLi0ELi2ELi0EEEviiP15ncclDevWorkColl: ; @_ZN12_GLOBAL__N_17runRingI12rccl_bfloat810FuncMinMaxIS1_E7ProtoLLLi0ELi2ELi0EEEviiP15ncclDevWorkColl
; %bb.0:
	s_waitcnt vmcnt(0) expcnt(0) lgkmcnt(0)
	s_cbranch_execnz .LBB2_15
; %bb.1:
	v_mov_b32_e32 v4, v0
	s_clause 0x2
	flat_load_b32 v0, v[2:3]
	flat_load_b128 v[5:8], v[2:3] offset:72
	flat_load_b64 v[17:18], v[2:3] offset:88
	s_mov_b32 s0, exec_lo
                                        ; implicit-def: $vgpr25_vgpr26
	s_waitcnt vmcnt(2) lgkmcnt(2)
	v_and_b32_e32 v11, 0xff, v0
	v_bfe_u32 v10, v0, 8, 8
	s_delay_alu instid0(VALU_DEP_2) | instskip(SKIP_3) | instid1(VALU_DEP_1)
	v_not_b32_e32 v0, v11
	ds_load_b32 v9, v0
	ds_load_b64 v[23:24], v0
	v_add_nc_u32_e32 v12, v10, v0
	v_ashrrev_i32_e32 v13, 31, v12
	s_waitcnt vmcnt(1) lgkmcnt(3)
	v_mul_lo_u32 v14, v8, v12
	v_mad_u64_u32 v[19:20], null, v7, v12, 0
	s_delay_alu instid0(VALU_DEP_3) | instskip(NEXT) | instid1(VALU_DEP_1)
	v_mul_lo_u32 v12, v7, v13
	v_add3_u32 v66, v20, v12, v14
	s_waitcnt lgkmcnt(1)
	v_readfirstlane_b32 s14, v9
                                        ; implicit-def: $vgpr20_vgpr21
	v_cmpx_ne_u32_e64 v11, v9
	s_xor_b32 s0, exec_lo, s0
	s_cbranch_execz .LBB2_7
; %bb.2:
	s_mov_b32 s1, exec_lo
                                        ; implicit-def: $vgpr20_vgpr21
                                        ; implicit-def: $vgpr25_vgpr26
	v_cmpx_ne_u32_e64 v10, v9
	s_xor_b32 s1, exec_lo, s1
	s_cbranch_execz .LBB2_4
; %bb.3:
	flat_load_b64 v[10:11], v[2:3] offset:96
	v_add_nc_u32_e32 v0, v9, v0
	s_delay_alu instid0(VALU_DEP_1) | instskip(SKIP_2) | instid1(VALU_DEP_3)
	v_ashrrev_i32_e32 v9, 31, v0
	v_mul_lo_u32 v12, v8, v0
	v_mad_u64_u32 v[25:26], null, v7, v0, v[5:6]
	v_mul_lo_u32 v9, v7, v9
	s_delay_alu instid0(VALU_DEP_1)
	v_add3_u32 v26, v12, v26, v9
	s_waitcnt vmcnt(0) lgkmcnt(0)
	v_lshrrev_b64 v[20:21], 17, v[10:11]
.LBB2_4:
	s_and_not1_saveexec_b32 s1, s1
	s_cbranch_execz .LBB2_6
; %bb.5:
	flat_load_b32 v0, v[2:3] offset:100
	v_add_co_u32 v25, vcc_lo, v19, v5
	v_add_co_ci_u32_e32 v26, vcc_lo, v66, v6, vcc_lo
	s_waitcnt vmcnt(1)
	v_dual_mov_b32 v7, v17 :: v_dual_mov_b32 v8, v18
	s_waitcnt vmcnt(0) lgkmcnt(0)
	v_lshrrev_b32_e32 v20, 6, v0
.LBB2_6:
	s_or_b32 exec_lo, exec_lo, s1
.LBB2_7:
	s_and_not1_saveexec_b32 s0, s0
	s_cbranch_execz .LBB2_9
; %bb.8:
	flat_load_b64 v[7:8], v[2:3] offset:96
	v_mov_b32_e32 v25, 0
	v_mov_b32_e32 v26, 0
	s_waitcnt vmcnt(0) lgkmcnt(0)
	v_lshlrev_b64 v[20:21], 4, v[7:8]
	v_dual_mov_b32 v8, v6 :: v_dual_mov_b32 v7, v5
.LBB2_9:
	s_or_b32 exec_lo, exec_lo, s0
	s_load_b32 s0, s[8:9], 0x0
	v_mov_b32_e32 v0, 0
	flat_load_b64 v[54:55], v[2:3] offset:104
	s_mov_b32 s2, 0
	s_waitcnt lgkmcnt(0)
	s_cmp_lt_u32 s12, s0
	s_cselect_b32 s0, 12, 18
	s_delay_alu instid0(SALU_CYCLE_1)
	s_add_u32 s0, s8, s0
	s_addc_u32 s1, s9, 0
	s_clause 0x2
	flat_load_b128 v[9:12], v[2:3] offset:16
	flat_load_u16 v14, v[2:3] offset:8
	flat_load_b32 v13, v[2:3] offset:4
	global_load_u16 v0, v0, s[0:1]
	s_cbranch_execnz .LBB2_17
; %bb.10:
	s_waitcnt vmcnt(0)
	ds_load_b32 v2, v0
	s_waitcnt lgkmcnt(1)
	v_lshrrev_b64 v[13:14], 31, v[13:14]
	s_delay_alu instid0(VALU_DEP_1)
	v_and_b32_e32 v14, 3, v13
	v_and_b32_e32 v13, 31, v4
	s_waitcnt lgkmcnt(0)
	v_cmp_gt_i32_e32 vcc_lo, 0, v2
	v_readfirstlane_b32 s1, v2
	s_cbranch_vccnz .LBB2_19
; %bb.11:
	v_cmp_eq_u32_e32 vcc_lo, 0, v13
	s_cbranch_execnz .LBB2_23
; %bb.12:
	ds_load_b64 v[15:16], v0
	v_mov_b32_e32 v3, 0
	v_and_b32_e32 v21, 0xffff, v14
	s_mov_b32 s2, 1
	s_delay_alu instid0(VALU_DEP_2) | instskip(SKIP_1) | instid1(VALU_DEP_1)
	v_lshlrev_b64 v[2:3], 3, v[2:3]
	s_waitcnt lgkmcnt(0)
	v_add_co_u32 v2, s0, v15, v2
	s_delay_alu instid0(VALU_DEP_1)
	v_add_co_ci_u32_e64 v3, s0, v16, v3, s0
	flat_load_b64 v[2:3], v[2:3]
	s_waitcnt vmcnt(0) lgkmcnt(0)
	v_mad_u64_u32 v[15:16], null, 0xa8, v21, v[2:3]
	s_clause 0x1
	flat_load_b64 v[29:30], v[15:16] offset:504
	flat_load_b64 v[32:33], v[15:16] offset:608
	v_add_co_u32 v2, s0, 0x1f8, v15
	s_delay_alu instid0(VALU_DEP_1) | instskip(NEXT) | instid1(VALU_DEP_1)
	v_add_co_ci_u32_e64 v3, s0, 0, v16, s0
	v_dual_cndmask_b32 v27, 0, v2 :: v_dual_cndmask_b32 v28, 0, v3
	s_cbranch_execz .LBB2_20
.LBB2_13:
	s_trap 2
	s_sendmsg_rtn_b32 s0, sendmsg(MSG_RTN_GET_DOORBELL)
	s_mov_b32 ttmp2, m0
	s_waitcnt lgkmcnt(0)
	s_and_b32 s0, s0, 0x3ff
	s_delay_alu instid0(SALU_CYCLE_1) | instskip(NEXT) | instid1(SALU_CYCLE_1)
	s_bitset1_b32 s0, 10
	s_mov_b32 m0, s0
	s_sendmsg sendmsg(MSG_INTERRUPT)
	s_mov_b32 m0, ttmp2
.LBB2_14:                               ; =>This Inner Loop Header: Depth=1
	s_sethalt 5
	s_branch .LBB2_14
.LBB2_15:
	s_trap 2
	s_sendmsg_rtn_b32 s0, sendmsg(MSG_RTN_GET_DOORBELL)
	s_mov_b32 ttmp2, m0
	s_waitcnt lgkmcnt(0)
	s_and_b32 s0, s0, 0x3ff
	s_delay_alu instid0(SALU_CYCLE_1) | instskip(NEXT) | instid1(SALU_CYCLE_1)
	s_bitset1_b32 s0, 10
	s_mov_b32 m0, s0
	s_sendmsg sendmsg(MSG_INTERRUPT)
	s_mov_b32 m0, ttmp2
.LBB2_16:                               ; =>This Inner Loop Header: Depth=1
	s_sethalt 5
	s_branch .LBB2_16
.LBB2_17:
	s_trap 2
	s_sendmsg_rtn_b32 s0, sendmsg(MSG_RTN_GET_DOORBELL)
	s_mov_b32 ttmp2, m0
	s_waitcnt lgkmcnt(0)
	s_and_b32 s0, s0, 0x3ff
	s_delay_alu instid0(SALU_CYCLE_1) | instskip(NEXT) | instid1(SALU_CYCLE_1)
	s_bitset1_b32 s0, 10
	s_mov_b32 m0, s0
	s_sendmsg sendmsg(MSG_INTERRUPT)
	s_mov_b32 m0, ttmp2
.LBB2_18:                               ; =>This Inner Loop Header: Depth=1
	s_sethalt 5
	s_branch .LBB2_18
.LBB2_19:
	v_mov_b32_e32 v27, 0
	v_mov_b32_e32 v28, 0
                                        ; implicit-def: $vgpr32_vgpr33
                                        ; implicit-def: $vgpr29_vgpr30
	s_cbranch_execnz .LBB2_13
.LBB2_20:
	ds_load_b32 v2, v0
	v_mov_b32_e32 v36, 0
	v_mov_b32_e32 v37, 0
	s_waitcnt lgkmcnt(0)
	v_cmp_gt_i32_e32 vcc_lo, 0, v2
	s_cbranch_vccnz .LBB2_25
; %bb.21:
	s_cbranch_execnz .LBB2_957
; %bb.22:
	ds_load_b64 v[15:16], v0
	v_mov_b32_e32 v3, 0
	s_delay_alu instid0(VALU_DEP_1) | instskip(SKIP_1) | instid1(VALU_DEP_1)
	v_lshlrev_b64 v[2:3], 3, v[2:3]
	s_waitcnt lgkmcnt(0)
	v_add_co_u32 v2, vcc_lo, v15, v2
	s_delay_alu instid0(VALU_DEP_2)
	v_add_co_ci_u32_e32 v3, vcc_lo, v16, v3, vcc_lo
	v_and_b32_e32 v16, 0xffff, v14
	v_cmp_eq_u32_e32 vcc_lo, 0, v13
	flat_load_b64 v[2:3], v[2:3]
	s_waitcnt vmcnt(0) lgkmcnt(0)
	v_mad_u64_u32 v[14:15], null, 0xa8, v16, v[2:3]
	s_clause 0x1
	flat_load_b64 v[38:39], v[14:15]
	flat_load_b64 v[21:22], v[14:15] offset:104
	v_dual_cndmask_b32 v35, 0, v15 :: v_dual_cndmask_b32 v34, 0, v14
	s_branch .LBB2_26
.LBB2_23:
	s_trap 2
	s_sendmsg_rtn_b32 s0, sendmsg(MSG_RTN_GET_DOORBELL)
	s_mov_b32 ttmp2, m0
	s_waitcnt lgkmcnt(0)
	s_and_b32 s0, s0, 0x3ff
	s_delay_alu instid0(SALU_CYCLE_1) | instskip(NEXT) | instid1(SALU_CYCLE_1)
	s_bitset1_b32 s0, 10
	s_mov_b32 m0, s0
	s_sendmsg sendmsg(MSG_INTERRUPT)
	s_mov_b32 m0, ttmp2
.LBB2_24:                               ; =>This Inner Loop Header: Depth=1
	s_sethalt 5
	s_branch .LBB2_24
.LBB2_25:
	s_delay_alu instid0(VALU_DEP_2)
	v_dual_mov_b32 v34, v36 :: v_dual_mov_b32 v35, v37
                                        ; implicit-def: $vgpr21_vgpr22
                                        ; implicit-def: $vgpr38_vgpr39
.LBB2_26:
	v_subrev_nc_u32_e32 v2, 32, v1
	v_cmp_gt_u32_e64 s0, s2, v13
                                        ; implicit-def: $vgpr48_vgpr49
	s_delay_alu instid0(VALU_DEP_2) | instskip(NEXT) | instid1(VALU_DEP_2)
	v_cmp_le_i32_e32 vcc_lo, v2, v4
	s_and_b32 s11, vcc_lo, s0
	s_delay_alu instid0(SALU_CYCLE_1)
	s_and_saveexec_b32 s0, s11
; %bb.27:
	s_clause 0x1
	flat_load_b64 v[36:37], v[27:28] offset:56
	flat_load_b64 v[48:49], v[27:28] offset:104
; %bb.28:
	s_or_b32 exec_lo, exec_lo, s0
	v_mov_b32_e32 v2, 0
	v_mov_b32_e32 v3, 0
	v_cmp_gt_i32_e64 s0, s2, v4
                                        ; implicit-def: $vgpr52_vgpr53
	s_delay_alu instid0(VALU_DEP_2) | instskip(SKIP_1) | instid1(VALU_DEP_3)
	v_dual_mov_b32 v14, v3 :: v_dual_mov_b32 v13, v2
	v_dual_mov_b32 v51, v3 :: v_dual_mov_b32 v50, v2
	s_and_saveexec_b32 s2, s0
	s_cbranch_execz .LBB2_30
; %bb.29:
	flat_load_b64 v[50:51], v[34:35] offset:56
	s_waitcnt vmcnt(0) lgkmcnt(0)
	flat_load_b64 v[52:53], v[50:51] glc dlc
	s_waitcnt vmcnt(0)
	flat_load_b128 v[13:16], v[34:35] offset:96
.LBB2_30:
	s_or_b32 exec_lo, exec_lo, s2
	v_and_b32_e32 v0, 0xffff, v0
	s_mov_b32 s12, exec_lo
	v_cmpx_ne_u64_e32 0, v[7:8]
	s_cbranch_execz .LBB2_945
; %bb.31:
	v_add_co_u32 v2, vcc_lo, v17, v5
	s_ashr_i32 s2, s1, 31
	v_add_co_ci_u32_e32 v3, vcc_lo, v18, v6, vcc_lo
	s_lshr_b32 s2, s2, 29
	s_ashr_i32 s15, s14, 31
	v_add_co_u32 v98, vcc_lo, v2, v19
	s_add_i32 s1, s1, s2
	s_lshl_b64 s[2:3], s[14:15], 2
	v_add_co_ci_u32_e32 v99, vcc_lo, v3, v66, vcc_lo
	v_add_co_u32 v3, vcc_lo, v23, s2
	v_add_co_ci_u32_e32 v5, vcc_lo, s3, v24, vcc_lo
	v_ashrrev_i32_e32 v2, 31, v1
	s_delay_alu instid0(VALU_DEP_3) | instskip(SKIP_1) | instid1(VALU_DEP_4)
	v_add_co_u32 v66, vcc_lo, v3, -4
	v_lshlrev_b32_e32 v101, 3, v4
	v_add_co_ci_u32_e32 v67, vcc_lo, -1, v5, vcc_lo
	v_dual_mov_b32 v130, 0 :: v_dual_and_b32 v5, 31, v31
	v_lshrrev_b32_e32 v6, 27, v2
	s_delay_alu instid0(VALU_DEP_4) | instskip(SKIP_1) | instid1(VALU_DEP_4)
	v_ashrrev_i32_e32 v112, 31, v101
	v_add_co_u32 v114, vcc_lo, v11, v101
	v_cmp_eq_u32_e64 s5, 0, v5
	v_ashrrev_i32_e32 v5, 31, v4
	v_add_nc_u32_e32 v3, v1, v6
	v_dual_mov_b32 v55, 0 :: v_dual_and_b32 v64, 0x1fffff0, v20
	v_add_co_ci_u32_e32 v115, vcc_lo, v12, v112, vcc_lo
	v_add_co_u32 v116, vcc_lo, v9, v101
	v_lshlrev_b64 v[17:18], 4, v[4:5]
	v_add_co_ci_u32_e32 v117, vcc_lo, v10, v112, vcc_lo
	v_dual_mov_b32 v9, 0 :: v_dual_lshlrev_b32 v118, 6, v1
	v_mov_b32_e32 v10, 0
	v_ashrrev_i32_e32 v100, 5, v3
	v_and_b32_e32 v3, 1, v54
	v_dual_mov_b32 v65, v55 :: v_dual_lshlrev_b32 v102, 3, v1
	v_add_co_u32 v5, vcc_lo, v114, v25
	v_add_co_ci_u32_e32 v6, vcc_lo, v115, v26, vcc_lo
	s_ashr_i32 s4, s1, 3
	s_waitcnt vmcnt(1) lgkmcnt(1)
	v_add_co_u32 v119, vcc_lo, v38, v17
	s_ashr_i32 s13, s1, 7
	v_cmp_ne_u64_e64 s1, 0, v[50:51]
	s_waitcnt vmcnt(0) lgkmcnt(0)
	v_cmp_ne_u64_e64 s2, 0, v[13:14]
	v_cmp_eq_u32_e64 s6, 1, v3
	v_cmp_ne_u64_e64 s7, 0, v[36:37]
	v_lshlrev_b64 v[68:69], 4, v[1:2]
	v_mov_b32_e32 v2, v9
	s_and_b32 s15, s4, -16
	v_cmp_ne_u32_e64 s3, 32, v1
	v_cmp_ne_u32_e64 s4, v0, v1
	v_ashrrev_i32_e32 v103, 31, v100
	v_ashrrev_i32_e32 v113, 31, v102
	v_add_co_ci_u32_e32 v128, vcc_lo, v39, v18, vcc_lo
	v_mov_b32_e32 v129, 1
	v_mov_b32_e32 v3, v10
	s_cmp_gt_i32 s14, 2
	s_mov_b32 s16, 0
	s_cselect_b32 s17, -1, 0
.LBB2_32:                               ; =>This Loop Header: Depth=1
                                        ;     Child Loop BB2_39 Depth 2
                                        ;     Child Loop BB2_59 Depth 2
	;; [unrolled: 1-line block ×5, first 2 shown]
                                        ;       Child Loop BB2_92 Depth 3
                                        ;       Child Loop BB2_112 Depth 3
	;; [unrolled: 1-line block ×3, first 2 shown]
                                        ;         Child Loop BB2_138 Depth 4
                                        ;       Child Loop BB2_508 Depth 3
                                        ;       Child Loop BB2_525 Depth 3
                                        ;     Child Loop BB2_530 Depth 2
                                        ;       Child Loop BB2_538 Depth 3
                                        ;     Child Loop BB2_928 Depth 2
	s_waitcnt vmcnt(0) lgkmcnt(0)
	flat_load_b32 v19, v[66:67]
	v_sub_co_u32 v17, vcc_lo, v7, v9
	v_sub_co_ci_u32_e32 v18, vcc_lo, v8, v10, vcc_lo
	s_delay_alu instid0(VALU_DEP_1) | instskip(SKIP_1) | instid1(VALU_DEP_1)
	v_cmp_lt_u64_e32 vcc_lo, v[64:65], v[17:18]
	v_cndmask_b32_e32 v20, v17, v64, vcc_lo
	v_lshl_add_u32 v17, v20, 1, 14
	s_delay_alu instid0(VALU_DEP_1)
	v_and_b32_e32 v132, 0x7fffff0, v17
	s_and_saveexec_b32 s8, s1
	s_cbranch_execz .LBB2_50
; %bb.33:                               ;   in Loop: Header=BB2_32 Depth=1
	v_add_co_u32 v17, vcc_lo, v15, 1
	v_add_co_ci_u32_e32 v18, vcc_lo, 0, v16, vcc_lo
	v_add_co_u32 v70, vcc_lo, v52, 8
	v_add_co_ci_u32_e32 v71, vcc_lo, 0, v53, vcc_lo
	s_mov_b32 s9, exec_lo
	s_delay_alu instid0(VALU_DEP_1)
	v_cmpx_lt_u64_e64 v[70:71], v[17:18]
	s_cbranch_execz .LBB2_47
; %bb.34:                               ;   in Loop: Header=BB2_32 Depth=1
	s_sleep 1
	flat_load_b64 v[52:53], v[50:51] glc
	v_cmp_eq_u32_e32 vcc_lo, 0, v130
	s_and_saveexec_b32 s10, vcc_lo
	s_cbranch_execz .LBB2_46
; %bb.35:                               ;   in Loop: Header=BB2_32 Depth=1
	v_cndmask_b32_e64 v16, 0, 1, vcc_lo
	s_mov_b32 s18, 0
                                        ; implicit-def: $sgpr19
	s_branch .LBB2_39
.LBB2_36:                               ;   in Loop: Header=BB2_39 Depth=2
	s_or_b32 exec_lo, exec_lo, s22
	s_delay_alu instid0(SALU_CYCLE_1)
	s_or_not1_b32 s22, s23, exec_lo
.LBB2_37:                               ;   in Loop: Header=BB2_39 Depth=2
	s_or_b32 exec_lo, exec_lo, s21
	s_xor_b32 s21, s22, -1
	s_and_not1_b32 s19, s19, exec_lo
	s_and_b32 s21, s21, exec_lo
	s_delay_alu instid0(SALU_CYCLE_1)
	s_or_b32 s19, s19, s21
.LBB2_38:                               ;   in Loop: Header=BB2_39 Depth=2
	s_or_b32 exec_lo, exec_lo, s20
	s_delay_alu instid0(SALU_CYCLE_1) | instskip(NEXT) | instid1(SALU_CYCLE_1)
	s_and_b32 s20, exec_lo, s19
	s_or_b32 s18, s20, s18
	s_delay_alu instid0(SALU_CYCLE_1)
	s_and_not1_b32 exec_lo, exec_lo, s18
	s_cbranch_execz .LBB2_45
.LBB2_39:                               ;   Parent Loop BB2_32 Depth=1
                                        ; =>  This Inner Loop Header: Depth=2
	s_waitcnt vmcnt(0) lgkmcnt(0)
	v_add_co_u32 v70, vcc_lo, v52, 8
	v_add_co_ci_u32_e32 v71, vcc_lo, 0, v53, vcc_lo
	v_mov_b32_e32 v130, 0
	s_or_b32 s19, s19, exec_lo
	s_mov_b32 s20, exec_lo
	s_delay_alu instid0(VALU_DEP_2)
	v_cmpx_lt_u64_e64 v[70:71], v[17:18]
	s_cbranch_execz .LBB2_38
; %bb.40:                               ;   in Loop: Header=BB2_39 Depth=2
	s_sleep 1
	flat_load_b64 v[52:53], v[50:51] glc
	v_add_nc_u32_e32 v16, 1, v16
	v_mov_b32_e32 v130, 0
	s_mov_b32 s22, -1
	s_mov_b32 s21, exec_lo
	s_delay_alu instid0(VALU_DEP_2)
	v_cmpx_eq_u32_e32 0x2710, v16
	s_cbranch_execz .LBB2_37
; %bb.41:                               ;   in Loop: Header=BB2_39 Depth=2
	s_cbranch_execnz .LBB2_963
; %bb.42:                               ;   in Loop: Header=BB2_39 Depth=2
	ds_load_b64 v[70:71], v0
	v_mov_b32_e32 v16, 0
	v_mov_b32_e32 v130, 0
	s_mov_b32 s23, -1
	s_mov_b32 s22, exec_lo
	s_waitcnt vmcnt(0) lgkmcnt(0)
	s_waitcnt_vscnt null, 0x0
	flat_load_b32 v54, v[70:71] glc
	s_waitcnt vmcnt(0) lgkmcnt(0)
	buffer_gl1_inv
	buffer_gl0_inv
	v_cmpx_ne_u32_e32 0, v54
	s_cbranch_execz .LBB2_36
; %bb.43:                               ;   in Loop: Header=BB2_39 Depth=2
	ds_store_b32 v0, v54
	s_cbranch_execnz .LBB2_988
; %bb.44:                               ;   in Loop: Header=BB2_39 Depth=2
	v_mov_b32_e32 v130, 1
	s_xor_b32 s23, exec_lo, -1
	s_branch .LBB2_36
.LBB2_45:                               ;   in Loop: Header=BB2_32 Depth=1
	s_or_b32 exec_lo, exec_lo, s18
.LBB2_46:                               ;   in Loop: Header=BB2_32 Depth=1
	s_delay_alu instid0(SALU_CYCLE_1)
	s_or_b32 exec_lo, exec_lo, s10
.LBB2_47:                               ;   in Loop: Header=BB2_32 Depth=1
	s_delay_alu instid0(SALU_CYCLE_1)
	s_or_b32 exec_lo, exec_lo, s9
	s_and_saveexec_b32 s9, s2
	s_cbranch_execz .LBB2_49
; %bb.48:                               ;   in Loop: Header=BB2_32 Depth=1
	v_and_b32_e32 v54, 0x7ffffff8, v15
	v_and_b32_e32 v16, 7, v15
	s_delay_alu instid0(VALU_DEP_2) | instskip(NEXT) | instid1(VALU_DEP_2)
	v_cmp_eq_u64_e32 vcc_lo, 0x7ffffff8, v[54:55]
	v_mad_u64_u32 v[70:71], null, v16, 24, v[13:14]
	v_cndmask_b32_e64 v15, v132, s15, vcc_lo
	s_delay_alu instid0(VALU_DEP_1)
	v_ashrrev_i32_e32 v16, 31, v15
	flat_store_b64 v[70:71], v[15:16] offset:8 dlc
	s_waitcnt_vscnt null, 0x0
.LBB2_49:                               ;   in Loop: Header=BB2_32 Depth=1
	s_or_b32 exec_lo, exec_lo, s9
	v_dual_mov_b32 v15, v17 :: v_dual_mov_b32 v16, v18
.LBB2_50:                               ;   in Loop: Header=BB2_32 Depth=1
	s_or_b32 exec_lo, exec_lo, s8
	s_and_saveexec_b32 s8, s3
	s_cbranch_execz .LBB2_72
; %bb.51:                               ;   in Loop: Header=BB2_32 Depth=1
	s_and_saveexec_b32 s9, s4
	s_delay_alu instid0(SALU_CYCLE_1)
	s_xor_b32 s9, exec_lo, s9
	s_cbranch_execz .LBB2_69
; %bb.52:                               ;   in Loop: Header=BB2_32 Depth=1
	s_and_saveexec_b32 s10, s5
	s_cbranch_execz .LBB2_68
; %bb.53:                               ;   in Loop: Header=BB2_32 Depth=1
	s_mov_b32 s19, exec_lo
	s_mov_b32 s18, exec_lo
	v_mbcnt_lo_u32_b32 v17, s19, 0
	s_waitcnt vmcnt(0) lgkmcnt(0)
	s_waitcnt_vscnt null, 0x0
	buffer_gl1_inv
	buffer_gl0_inv
	v_cmpx_eq_u32_e32 0, v17
	s_cbranch_execz .LBB2_55
; %bb.54:                               ;   in Loop: Header=BB2_32 Depth=1
	s_bcnt1_i32_b32 s19, s19
	s_delay_alu instid0(SALU_CYCLE_1)
	v_mov_b32_e32 v54, s19
	ds_add_u64 v0, v[54:55]
	s_cbranch_execnz .LBB2_982
.LBB2_55:                               ;   in Loop: Header=BB2_32 Depth=1
	s_or_b32 exec_lo, exec_lo, s18
	s_cbranch_execnz .LBB2_969
; %bb.56:                               ;   in Loop: Header=BB2_32 Depth=1
	ds_load_b64 v[17:18], v0
	v_add_co_u32 v2, vcc_lo, v2, v100
	v_add_co_ci_u32_e32 v3, vcc_lo, v3, v103, vcc_lo
	s_mov_b32 s18, exec_lo
	s_waitcnt lgkmcnt(0)
	s_delay_alu instid0(VALU_DEP_1)
	v_cmpx_lt_u64_e64 v[17:18], v[2:3]
	s_cbranch_execz .LBB2_67
; %bb.57:                               ;   in Loop: Header=BB2_32 Depth=1
	s_mov_b32 s19, 0
	s_mov_b32 s22, 0
                                        ; implicit-def: $sgpr20
                                        ; implicit-def: $sgpr21
	s_branch .LBB2_59
.LBB2_58:                               ;   in Loop: Header=BB2_59 Depth=2
	s_or_b32 exec_lo, exec_lo, s25
	s_delay_alu instid0(SALU_CYCLE_1) | instskip(NEXT) | instid1(SALU_CYCLE_1)
	s_and_b32 s23, exec_lo, s24
	s_or_b32 s19, s23, s19
	s_and_not1_b32 s20, s20, exec_lo
	s_and_b32 s23, s21, exec_lo
	s_delay_alu instid0(SALU_CYCLE_1)
	s_or_b32 s20, s20, s23
	s_and_not1_b32 exec_lo, exec_lo, s19
	s_cbranch_execz .LBB2_65
.LBB2_59:                               ;   Parent Loop BB2_32 Depth=1
                                        ; =>  This Inner Loop Header: Depth=2
	s_add_i32 s22, s22, 1
                                        ; implicit-def: $sgpr24
	s_delay_alu instid0(SALU_CYCLE_1) | instskip(SKIP_1) | instid1(SALU_CYCLE_1)
	s_cmpk_lg_i32 s22, 0x2710
	s_cselect_b32 s23, -1, 0
	s_and_b32 vcc_lo, exec_lo, s23
	s_cbranch_vccz .LBB2_63
.LBB2_60:                               ;   in Loop: Header=BB2_59 Depth=2
	s_and_not1_b32 s21, s21, exec_lo
	s_and_b32 s25, s24, exec_lo
	s_mov_b32 s24, -1
	s_or_b32 s21, s21, s25
	s_and_saveexec_b32 s25, s23
	s_cbranch_execz .LBB2_58
; %bb.61:                               ;   in Loop: Header=BB2_59 Depth=2
	s_sleep 1
	s_cbranch_execnz .LBB2_996
; %bb.62:                               ;   in Loop: Header=BB2_59 Depth=2
	ds_load_b64 v[17:18], v0
	s_and_not1_b32 s21, s21, exec_lo
	s_waitcnt lgkmcnt(0)
	v_cmp_ge_u64_e32 vcc_lo, v[17:18], v[2:3]
	s_or_not1_b32 s24, vcc_lo, exec_lo
	s_branch .LBB2_58
.LBB2_63:                               ;   in Loop: Header=BB2_59 Depth=2
	s_cbranch_execnz .LBB2_1004
; %bb.64:                               ;   in Loop: Header=BB2_59 Depth=2
	ds_load_b64 v[17:18], v0
	s_and_not1_b32 s23, s23, exec_lo
	s_mov_b32 s22, 0
	s_mov_b32 s24, -1
	s_waitcnt lgkmcnt(0)
	flat_load_b32 v17, v[17:18] glc
	s_waitcnt vmcnt(0) lgkmcnt(0)
	buffer_gl1_inv
	buffer_gl0_inv
	v_cmp_eq_u32_e32 vcc_lo, 0, v17
	s_and_b32 s25, vcc_lo, exec_lo
	s_delay_alu instid0(SALU_CYCLE_1)
	s_or_b32 s23, s23, s25
	s_branch .LBB2_60
.LBB2_65:                               ;   in Loop: Header=BB2_32 Depth=1
	s_or_b32 exec_lo, exec_lo, s19
	s_and_saveexec_b32 s19, s20
	s_delay_alu instid0(SALU_CYCLE_1)
	s_xor_b32 s19, exec_lo, s19
	s_cbranch_execz .LBB2_67
; %bb.66:                               ;   in Loop: Header=BB2_32 Depth=1
	ds_store_b32 v0, v129
	s_cbranch_execnz .LBB2_1029
.LBB2_67:                               ;   in Loop: Header=BB2_32 Depth=1
	s_or_b32 exec_lo, exec_lo, s18
	;;#ASMSTART
	s_wakeup
	;;#ASMEND
.LBB2_68:                               ;   in Loop: Header=BB2_32 Depth=1
	s_or_b32 exec_lo, exec_lo, s10
.LBB2_69:                               ;   in Loop: Header=BB2_32 Depth=1
	s_and_not1_saveexec_b32 s9, s9
	s_cbranch_execz .LBB2_71
; %bb.70:                               ;   in Loop: Header=BB2_32 Depth=1
	s_waitcnt vmcnt(0) lgkmcnt(0)
	s_waitcnt_vscnt null, 0x0
	buffer_gl1_inv
	buffer_gl0_inv
	s_barrier
.LBB2_71:                               ;   in Loop: Header=BB2_32 Depth=1
	s_or_b32 exec_lo, exec_lo, s9
.LBB2_72:                               ;   in Loop: Header=BB2_32 Depth=1
	s_delay_alu instid0(SALU_CYCLE_1) | instskip(SKIP_2) | instid1(VALU_DEP_2)
	s_or_b32 exec_lo, exec_lo, s8
	v_sub_nc_u32_e32 v131, v20, v101
	v_mov_b32_e32 v70, v4
	v_cmp_lt_i32_e64 s8, 0, v131
	s_delay_alu instid0(VALU_DEP_1)
	s_and_saveexec_b32 s10, s8
	s_cbranch_execz .LBB2_80
; %bb.73:                               ;   in Loop: Header=BB2_32 Depth=1
	v_dual_mov_b32 v70, v21 :: v_dual_and_b32 v17, 7, v21
	s_waitcnt vmcnt(0) lgkmcnt(0)
	v_ashrrev_i32_e32 v20, 31, v19
	v_mad_u64_u32 v[80:81], null, v98, v19, v[5:6]
	s_delay_alu instid0(VALU_DEP_3) | instskip(SKIP_1) | instid1(VALU_DEP_4)
	v_mul_lo_u32 v17, v17, s13
	v_mul_lo_u32 v82, v99, v19
	;; [unrolled: 1-line block ×4, first 2 shown]
	v_add_co_u32 v71, vcc_lo, 0, 0
	v_mov_b32_e32 v54, v131
	s_mov_b32 s18, 0
	v_ashrrev_i32_e32 v18, 31, v17
	v_add3_u32 v81, v82, v81, v84
	v_add_lshl_u32 v86, v5, v83, 3
	s_delay_alu instid0(VALU_DEP_3) | instskip(SKIP_2) | instid1(VALU_DEP_3)
	v_lshlrev_b64 v[19:20], 4, v[17:18]
	v_add_co_ci_u32_e32 v18, vcc_lo, 1, v70, vcc_lo
	v_mov_b32_e32 v70, v4
	v_add_co_u32 v82, vcc_lo, v119, v19
	s_delay_alu instid0(VALU_DEP_4)
	v_add_co_ci_u32_e32 v83, vcc_lo, v128, v20, vcc_lo
	s_set_inst_prefetch_distance 0x1
	s_branch .LBB2_75
	.p2align	6
.LBB2_74:                               ;   in Loop: Header=BB2_75 Depth=2
	s_or_b32 exec_lo, exec_lo, s9
	s_waitcnt vmcnt(0) lgkmcnt(0)
	v_alignbit_b32 v17, v96, v17, v86
	v_alignbit_b32 v19, v87, v96, v86
	v_mov_b32_e32 v20, v18
	v_sub_nc_u32_e32 v54, v54, v102
	v_add_co_u32 v80, vcc_lo, v80, v102
	v_or_b32_e32 v17, v71, v17
	v_or_b32_e32 v19, v71, v19
	v_add_co_ci_u32_e32 v81, vcc_lo, v81, v113, vcc_lo
	v_cmp_gt_i32_e32 vcc_lo, 1, v54
	v_add_nc_u32_e32 v70, v70, v1
	global_store_b128 v[82:83], v[17:20], off
	v_add_co_u32 v82, s9, v82, v68
	v_add_nc_u32_e32 v86, v86, v118
	v_add_co_ci_u32_e64 v83, s9, v83, v69, s9
	s_or_b32 s18, vcc_lo, s18
	s_delay_alu instid0(SALU_CYCLE_1)
	s_and_not1_b32 exec_lo, exec_lo, s18
	s_cbranch_execz .LBB2_79
.LBB2_75:                               ;   Parent Loop BB2_32 Depth=1
                                        ; =>  This Inner Loop Header: Depth=2
	v_dual_mov_b32 v20, v81 :: v_dual_and_b32 v19, -4, v80
	v_min_u32_e32 v84, 8, v54
	v_dual_mov_b32 v96, 0 :: v_dual_and_b32 v85, 3, v80
	v_mov_b32_e32 v87, 0
	flat_load_b32 v17, v[19:20] glc
	v_add_co_u32 v84, s9, v85, v84
	s_delay_alu instid0(VALU_DEP_1) | instskip(SKIP_1) | instid1(VALU_DEP_1)
	v_add_co_ci_u32_e64 v85, null, 0, 0, s9
	s_mov_b32 s9, exec_lo
	v_cmpx_lt_u64_e32 4, v[84:85]
	s_cbranch_execz .LBB2_77
; %bb.76:                               ;   in Loop: Header=BB2_75 Depth=2
	flat_load_b32 v96, v[19:20] offset:4 glc
.LBB2_77:                               ;   in Loop: Header=BB2_75 Depth=2
	s_or_b32 exec_lo, exec_lo, s9
	s_delay_alu instid0(SALU_CYCLE_1)
	s_mov_b32 s9, exec_lo
	v_cmpx_lt_u64_e32 8, v[84:85]
	s_cbranch_execz .LBB2_74
; %bb.78:                               ;   in Loop: Header=BB2_75 Depth=2
	flat_load_b32 v87, v[19:20] offset:8 glc
	s_branch .LBB2_74
.LBB2_79:                               ;   in Loop: Header=BB2_32 Depth=1
	s_set_inst_prefetch_distance 0x2
	s_or_b32 exec_lo, exec_lo, s18
.LBB2_80:                               ;   in Loop: Header=BB2_32 Depth=1
	s_delay_alu instid0(SALU_CYCLE_1) | instskip(SKIP_2) | instid1(VALU_DEP_2)
	s_or_b32 exec_lo, exec_lo, s10
	v_and_b32_e32 v54, 0x7ffffff8, v21
	v_cmp_gt_i32_e64 s9, s13, v70
	v_cmp_eq_u64_e32 vcc_lo, 0x7ffffff8, v[54:55]
	s_delay_alu instid0(VALU_DEP_2) | instskip(NEXT) | instid1(SALU_CYCLE_1)
	s_and_b32 s9, vcc_lo, s9
	s_and_saveexec_b32 s10, s9
	s_cbranch_execz .LBB2_83
; %bb.81:                               ;   in Loop: Header=BB2_32 Depth=1
	v_dual_mov_b32 v54, v21 :: v_dual_and_b32 v17, 7, v21
	v_ashrrev_i32_e32 v71, 31, v70
	s_mov_b32 s18, 0
	s_delay_alu instid0(VALU_DEP_2) | instskip(SKIP_1) | instid1(VALU_DEP_2)
	v_mul_lo_u32 v17, v17, s13
	s_waitcnt vmcnt(0) lgkmcnt(0)
	v_lshlrev_b64 v[19:20], 4, v[70:71]
	s_delay_alu instid0(VALU_DEP_2) | instskip(NEXT) | instid1(VALU_DEP_1)
	v_ashrrev_i32_e32 v18, 31, v17
	v_lshlrev_b64 v[17:18], 4, v[17:18]
	s_delay_alu instid0(VALU_DEP_1) | instskip(NEXT) | instid1(VALU_DEP_2)
	v_add_co_u32 v19, vcc_lo, v19, v17
	v_add_co_ci_u32_e32 v20, vcc_lo, v20, v18, vcc_lo
	v_add_co_u32 v17, vcc_lo, 0, 0
	v_add_co_ci_u32_e32 v18, vcc_lo, 1, v54, vcc_lo
	s_delay_alu instid0(VALU_DEP_4) | instskip(NEXT) | instid1(VALU_DEP_4)
	v_add_co_u32 v80, vcc_lo, v38, v19
	v_add_co_ci_u32_e32 v81, vcc_lo, v39, v20, vcc_lo
.LBB2_82:                               ;   Parent Loop BB2_32 Depth=1
                                        ; =>  This Inner Loop Header: Depth=2
	s_delay_alu instid0(VALU_DEP_4) | instskip(NEXT) | instid1(VALU_DEP_4)
	v_dual_mov_b32 v19, v17 :: v_dual_add_nc_u32 v70, v70, v1
	v_mov_b32_e32 v20, v18
	s_delay_alu instid0(VALU_DEP_2) | instskip(SKIP_2) | instid1(VALU_DEP_1)
	v_cmp_le_i32_e32 vcc_lo, s13, v70
	global_store_b128 v[80:81], v[17:20], off
	v_add_co_u32 v80, s9, v80, v68
	v_add_co_ci_u32_e64 v81, s9, v81, v69, s9
	s_or_b32 s18, vcc_lo, s18
	s_delay_alu instid0(SALU_CYCLE_1)
	s_and_not1_b32 exec_lo, exec_lo, s18
	s_cbranch_execnz .LBB2_82
.LBB2_83:                               ;   in Loop: Header=BB2_32 Depth=1
	s_or_b32 exec_lo, exec_lo, s10
	v_add_co_u32 v133, vcc_lo, v9, v25
	v_add_co_ci_u32_e32 v134, vcc_lo, v10, v26, vcc_lo
	v_add_co_u32 v70, vcc_lo, v21, 1
	v_add_co_ci_u32_e32 v71, vcc_lo, 0, v22, vcc_lo
	s_and_not1_b32 vcc_lo, exec_lo, s17
	s_cbranch_vccnz .LBB2_527
; %bb.84:                               ;   in Loop: Header=BB2_32 Depth=1
	v_add_co_u32 v80, vcc_lo, v114, v133
	v_add_co_ci_u32_e32 v81, vcc_lo, v115, v134, vcc_lo
	v_add_nc_u16 v135, v21, 1
	s_mov_b32 s18, 2
.LBB2_85:                               ;   Parent Loop BB2_32 Depth=1
                                        ; =>  This Loop Header: Depth=2
                                        ;       Child Loop BB2_92 Depth 3
                                        ;       Child Loop BB2_112 Depth 3
	;; [unrolled: 1-line block ×3, first 2 shown]
                                        ;         Child Loop BB2_138 Depth 4
                                        ;       Child Loop BB2_508 Depth 3
                                        ;       Child Loop BB2_525 Depth 3
	s_delay_alu instid0(SALU_CYCLE_1) | instskip(NEXT) | instid1(SALU_CYCLE_1)
	s_sub_i32 s20, s14, s18
	s_ashr_i32 s21, s20, 31
	s_delay_alu instid0(SALU_CYCLE_1) | instskip(NEXT) | instid1(SALU_CYCLE_1)
	s_lshl_b64 s[20:21], s[20:21], 2
	v_add_co_u32 v17, vcc_lo, v23, s20
	v_add_co_ci_u32_e32 v18, vcc_lo, s21, v24, vcc_lo
	s_waitcnt vmcnt(0) lgkmcnt(0)
	flat_load_b32 v19, v[17:18]
	s_and_saveexec_b32 s9, s1
	s_cbranch_execz .LBB2_103
; %bb.86:                               ;   in Loop: Header=BB2_85 Depth=2
	v_add_co_u32 v17, vcc_lo, v15, 1
	v_add_co_ci_u32_e32 v18, vcc_lo, 0, v16, vcc_lo
	v_add_co_u32 v20, vcc_lo, v52, 8
	v_add_co_ci_u32_e32 v21, vcc_lo, 0, v53, vcc_lo
	s_mov_b32 s10, exec_lo
	s_delay_alu instid0(VALU_DEP_1)
	v_cmpx_lt_u64_e64 v[20:21], v[17:18]
	s_cbranch_execz .LBB2_100
; %bb.87:                               ;   in Loop: Header=BB2_85 Depth=2
	s_sleep 1
	flat_load_b64 v[52:53], v[50:51] glc
	v_cmp_eq_u32_e32 vcc_lo, 0, v130
	s_and_saveexec_b32 s19, vcc_lo
	s_cbranch_execz .LBB2_99
; %bb.88:                               ;   in Loop: Header=BB2_85 Depth=2
	v_cndmask_b32_e64 v16, 0, 1, vcc_lo
	s_mov_b32 s20, 0
                                        ; implicit-def: $sgpr21
	s_branch .LBB2_92
.LBB2_89:                               ;   in Loop: Header=BB2_92 Depth=3
	s_or_b32 exec_lo, exec_lo, s24
	s_delay_alu instid0(SALU_CYCLE_1)
	s_or_not1_b32 s24, s25, exec_lo
.LBB2_90:                               ;   in Loop: Header=BB2_92 Depth=3
	s_or_b32 exec_lo, exec_lo, s23
	s_xor_b32 s23, s24, -1
	s_and_not1_b32 s21, s21, exec_lo
	s_and_b32 s23, s23, exec_lo
	s_delay_alu instid0(SALU_CYCLE_1)
	s_or_b32 s21, s21, s23
.LBB2_91:                               ;   in Loop: Header=BB2_92 Depth=3
	s_or_b32 exec_lo, exec_lo, s22
	s_delay_alu instid0(SALU_CYCLE_1) | instskip(NEXT) | instid1(SALU_CYCLE_1)
	s_and_b32 s22, exec_lo, s21
	s_or_b32 s20, s22, s20
	s_delay_alu instid0(SALU_CYCLE_1)
	s_and_not1_b32 exec_lo, exec_lo, s20
	s_cbranch_execz .LBB2_98
.LBB2_92:                               ;   Parent Loop BB2_32 Depth=1
                                        ;     Parent Loop BB2_85 Depth=2
                                        ; =>    This Inner Loop Header: Depth=3
	s_waitcnt vmcnt(0) lgkmcnt(0)
	v_add_co_u32 v20, vcc_lo, v52, 8
	v_add_co_ci_u32_e32 v21, vcc_lo, 0, v53, vcc_lo
	v_mov_b32_e32 v130, 0
	s_or_b32 s21, s21, exec_lo
	s_mov_b32 s22, exec_lo
	s_delay_alu instid0(VALU_DEP_2)
	v_cmpx_lt_u64_e64 v[20:21], v[17:18]
	s_cbranch_execz .LBB2_91
; %bb.93:                               ;   in Loop: Header=BB2_92 Depth=3
	s_sleep 1
	flat_load_b64 v[52:53], v[50:51] glc
	v_add_nc_u32_e32 v16, 1, v16
	v_mov_b32_e32 v130, 0
	s_mov_b32 s24, -1
	s_mov_b32 s23, exec_lo
	s_delay_alu instid0(VALU_DEP_2)
	v_cmpx_eq_u32_e32 0x2710, v16
	s_cbranch_execz .LBB2_90
; %bb.94:                               ;   in Loop: Header=BB2_92 Depth=3
	s_cbranch_execnz .LBB2_965
; %bb.95:                               ;   in Loop: Header=BB2_92 Depth=3
	ds_load_b64 v[20:21], v0
	v_mov_b32_e32 v16, 0
	v_mov_b32_e32 v130, 0
	s_mov_b32 s25, -1
	s_mov_b32 s24, exec_lo
	s_waitcnt vmcnt(0) lgkmcnt(0)
	s_waitcnt_vscnt null, 0x0
	flat_load_b32 v20, v[20:21] glc
	s_waitcnt vmcnt(0) lgkmcnt(0)
	buffer_gl1_inv
	buffer_gl0_inv
	v_cmpx_ne_u32_e32 0, v20
	s_cbranch_execz .LBB2_89
; %bb.96:                               ;   in Loop: Header=BB2_92 Depth=3
	ds_store_b32 v0, v20
	s_cbranch_execnz .LBB2_992
; %bb.97:                               ;   in Loop: Header=BB2_92 Depth=3
	v_mov_b32_e32 v130, 1
	s_xor_b32 s25, exec_lo, -1
	s_branch .LBB2_89
.LBB2_98:                               ;   in Loop: Header=BB2_85 Depth=2
	s_or_b32 exec_lo, exec_lo, s20
.LBB2_99:                               ;   in Loop: Header=BB2_85 Depth=2
	s_delay_alu instid0(SALU_CYCLE_1)
	s_or_b32 exec_lo, exec_lo, s19
.LBB2_100:                              ;   in Loop: Header=BB2_85 Depth=2
	s_delay_alu instid0(SALU_CYCLE_1)
	s_or_b32 exec_lo, exec_lo, s10
	s_and_saveexec_b32 s10, s2
	s_cbranch_execz .LBB2_102
; %bb.101:                              ;   in Loop: Header=BB2_85 Depth=2
	v_and_b32_e32 v54, 0x7ffffff8, v15
	v_and_b32_e32 v16, 7, v15
	s_delay_alu instid0(VALU_DEP_2) | instskip(NEXT) | instid1(VALU_DEP_2)
	v_cmp_eq_u64_e32 vcc_lo, 0x7ffffff8, v[54:55]
	v_mad_u64_u32 v[20:21], null, v16, 24, v[13:14]
	v_cndmask_b32_e64 v15, v132, s15, vcc_lo
	s_delay_alu instid0(VALU_DEP_1)
	v_ashrrev_i32_e32 v16, 31, v15
	flat_store_b64 v[20:21], v[15:16] offset:8 dlc
	s_waitcnt_vscnt null, 0x0
.LBB2_102:                              ;   in Loop: Header=BB2_85 Depth=2
	s_or_b32 exec_lo, exec_lo, s10
	v_dual_mov_b32 v15, v17 :: v_dual_mov_b32 v16, v18
.LBB2_103:                              ;   in Loop: Header=BB2_85 Depth=2
	s_or_b32 exec_lo, exec_lo, s9
	s_and_saveexec_b32 s9, s3
	s_cbranch_execz .LBB2_125
; %bb.104:                              ;   in Loop: Header=BB2_85 Depth=2
	s_and_saveexec_b32 s10, s4
	s_delay_alu instid0(SALU_CYCLE_1)
	s_xor_b32 s10, exec_lo, s10
	s_cbranch_execz .LBB2_122
; %bb.105:                              ;   in Loop: Header=BB2_85 Depth=2
	s_and_saveexec_b32 s19, s5
	s_cbranch_execz .LBB2_121
; %bb.106:                              ;   in Loop: Header=BB2_85 Depth=2
	s_mov_b32 s21, exec_lo
	s_mov_b32 s20, exec_lo
	v_mbcnt_lo_u32_b32 v17, s21, 0
	s_waitcnt vmcnt(0) lgkmcnt(0)
	s_waitcnt_vscnt null, 0x0
	buffer_gl1_inv
	buffer_gl0_inv
	v_cmpx_eq_u32_e32 0, v17
	s_cbranch_execz .LBB2_108
; %bb.107:                              ;   in Loop: Header=BB2_85 Depth=2
	s_bcnt1_i32_b32 s21, s21
	s_delay_alu instid0(SALU_CYCLE_1)
	v_mov_b32_e32 v54, s21
	ds_add_u64 v0, v[54:55]
	s_cbranch_execnz .LBB2_990
.LBB2_108:                              ;   in Loop: Header=BB2_85 Depth=2
	s_or_b32 exec_lo, exec_lo, s20
	s_cbranch_execnz .LBB2_984
; %bb.109:                              ;   in Loop: Header=BB2_85 Depth=2
	ds_load_b64 v[17:18], v0
	v_add_co_u32 v2, vcc_lo, v2, v100
	v_add_co_ci_u32_e32 v3, vcc_lo, v3, v103, vcc_lo
	s_mov_b32 s20, exec_lo
	s_waitcnt lgkmcnt(0)
	s_delay_alu instid0(VALU_DEP_1)
	v_cmpx_lt_u64_e64 v[17:18], v[2:3]
	s_cbranch_execz .LBB2_120
; %bb.110:                              ;   in Loop: Header=BB2_85 Depth=2
	s_mov_b32 s21, 0
	s_mov_b32 s24, 0
                                        ; implicit-def: $sgpr22
                                        ; implicit-def: $sgpr23
	s_branch .LBB2_112
.LBB2_111:                              ;   in Loop: Header=BB2_112 Depth=3
	s_or_b32 exec_lo, exec_lo, s27
	s_delay_alu instid0(SALU_CYCLE_1) | instskip(NEXT) | instid1(SALU_CYCLE_1)
	s_and_b32 s25, exec_lo, s26
	s_or_b32 s21, s25, s21
	s_and_not1_b32 s22, s22, exec_lo
	s_and_b32 s25, s23, exec_lo
	s_delay_alu instid0(SALU_CYCLE_1)
	s_or_b32 s22, s22, s25
	s_and_not1_b32 exec_lo, exec_lo, s21
	s_cbranch_execz .LBB2_118
.LBB2_112:                              ;   Parent Loop BB2_32 Depth=1
                                        ;     Parent Loop BB2_85 Depth=2
                                        ; =>    This Inner Loop Header: Depth=3
	s_add_i32 s24, s24, 1
                                        ; implicit-def: $sgpr26
	s_delay_alu instid0(SALU_CYCLE_1) | instskip(SKIP_1) | instid1(SALU_CYCLE_1)
	s_cmpk_lg_i32 s24, 0x2710
	s_cselect_b32 s25, -1, 0
	s_and_b32 vcc_lo, exec_lo, s25
	s_cbranch_vccz .LBB2_116
.LBB2_113:                              ;   in Loop: Header=BB2_112 Depth=3
	s_and_not1_b32 s23, s23, exec_lo
	s_and_b32 s27, s26, exec_lo
	s_mov_b32 s26, -1
	s_or_b32 s23, s23, s27
	s_and_saveexec_b32 s27, s25
	s_cbranch_execz .LBB2_111
; %bb.114:                              ;   in Loop: Header=BB2_112 Depth=3
	s_sleep 1
	s_cbranch_execnz .LBB2_1008
; %bb.115:                              ;   in Loop: Header=BB2_112 Depth=3
	ds_load_b64 v[17:18], v0
	s_and_not1_b32 s23, s23, exec_lo
	s_waitcnt lgkmcnt(0)
	v_cmp_ge_u64_e32 vcc_lo, v[17:18], v[2:3]
	s_or_not1_b32 s26, vcc_lo, exec_lo
	s_branch .LBB2_111
.LBB2_116:                              ;   in Loop: Header=BB2_112 Depth=3
	s_cbranch_execnz .LBB2_1012
; %bb.117:                              ;   in Loop: Header=BB2_112 Depth=3
	ds_load_b64 v[17:18], v0
	s_and_not1_b32 s25, s25, exec_lo
	s_mov_b32 s24, 0
	s_mov_b32 s26, -1
	s_waitcnt lgkmcnt(0)
	flat_load_b32 v17, v[17:18] glc
	s_waitcnt vmcnt(0) lgkmcnt(0)
	buffer_gl1_inv
	buffer_gl0_inv
	v_cmp_eq_u32_e32 vcc_lo, 0, v17
	s_and_b32 s27, vcc_lo, exec_lo
	s_delay_alu instid0(SALU_CYCLE_1)
	s_or_b32 s25, s25, s27
	s_branch .LBB2_113
.LBB2_118:                              ;   in Loop: Header=BB2_85 Depth=2
	s_or_b32 exec_lo, exec_lo, s21
	s_and_saveexec_b32 s21, s22
	s_delay_alu instid0(SALU_CYCLE_1)
	s_xor_b32 s21, exec_lo, s21
	s_cbranch_execz .LBB2_120
; %bb.119:                              ;   in Loop: Header=BB2_85 Depth=2
	ds_store_b32 v0, v129
	s_cbranch_execnz .LBB2_1033
.LBB2_120:                              ;   in Loop: Header=BB2_85 Depth=2
	s_or_b32 exec_lo, exec_lo, s20
	;;#ASMSTART
	s_wakeup
	;;#ASMEND
.LBB2_121:                              ;   in Loop: Header=BB2_85 Depth=2
	s_or_b32 exec_lo, exec_lo, s19
.LBB2_122:                              ;   in Loop: Header=BB2_85 Depth=2
	s_and_not1_saveexec_b32 s10, s10
	s_cbranch_execz .LBB2_124
; %bb.123:                              ;   in Loop: Header=BB2_85 Depth=2
	s_waitcnt vmcnt(0) lgkmcnt(0)
	s_waitcnt_vscnt null, 0x0
	buffer_gl1_inv
	buffer_gl0_inv
	s_barrier
.LBB2_124:                              ;   in Loop: Header=BB2_85 Depth=2
	s_or_b32 exec_lo, exec_lo, s10
.LBB2_125:                              ;   in Loop: Header=BB2_85 Depth=2
	s_delay_alu instid0(SALU_CYCLE_1)
	s_or_b32 exec_lo, exec_lo, s9
	v_mov_b32_e32 v82, v4
	s_and_saveexec_b32 s19, s8
	s_cbranch_execz .LBB2_499
; %bb.126:                              ;   in Loop: Header=BB2_85 Depth=2
	v_dual_mov_b32 v82, v70 :: v_dual_and_b32 v17, 7, v32
	v_dual_mov_b32 v149, v131 :: v_dual_and_b32 v18, 7, v70
	s_waitcnt vmcnt(0) lgkmcnt(0)
	v_ashrrev_i32_e32 v21, 31, v19
	s_delay_alu instid0(VALU_DEP_3)
	v_mul_lo_u32 v17, v17, s13
	v_mad_u64_u32 v[84:85], null, v98, v19, v[80:81]
	v_mul_lo_u32 v20, v18, s13
	v_mul_lo_u32 v19, v99, v19
	;; [unrolled: 1-line block ×3, first 2 shown]
	v_add_nc_u32_e32 v54, 1, v32
	s_mov_b32 s20, 0
	v_ashrrev_i32_e32 v18, 31, v17
	v_ashrrev_i32_e32 v21, 31, v20
	s_delay_alu instid0(VALU_DEP_4) | instskip(NEXT) | instid1(VALU_DEP_3)
	v_add3_u32 v85, v19, v85, v22
	v_lshlrev_b64 v[17:18], 4, v[17:18]
	s_delay_alu instid0(VALU_DEP_3) | instskip(NEXT) | instid1(VALU_DEP_2)
	v_lshlrev_b64 v[19:20], 4, v[20:21]
	v_add_co_u32 v144, vcc_lo, v29, v17
	s_delay_alu instid0(VALU_DEP_3) | instskip(NEXT) | instid1(VALU_DEP_3)
	v_add_co_ci_u32_e32 v145, vcc_lo, v30, v18, vcc_lo
	v_add_co_u32 v146, vcc_lo, v38, v19
	s_delay_alu instid0(VALU_DEP_4)
	v_add_co_ci_u32_e32 v147, vcc_lo, v39, v20, vcc_lo
	v_add_co_u32 v148, vcc_lo, 0, 0
	v_add_co_ci_u32_e32 v18, vcc_lo, 1, v82, vcc_lo
	v_mov_b32_e32 v82, v4
	s_branch .LBB2_130
.LBB2_127:                              ;   in Loop: Header=BB2_130 Depth=3
	s_or_b32 exec_lo, exec_lo, s9
	s_delay_alu instid0(VALU_DEP_1) | instskip(NEXT) | instid1(VALU_DEP_2)
	v_lshrrev_b32_e32 v21, 21, v21
	v_min_i32_e32 v97, 31, v20
	v_cmp_gt_i32_e32 vcc_lo, 32, v20
	v_lshrrev_b32_e32 v160, 24, v161
	s_delay_alu instid0(VALU_DEP_3) | instskip(NEXT) | instid1(VALU_DEP_2)
	v_lshlrev_b32_e32 v97, 2, v97
	v_dual_cndmask_b32 v21, 3, v21 :: v_dual_and_b32 v160, 0x80, v160
	s_delay_alu instid0(VALU_DEP_2) | instskip(NEXT) | instid1(VALU_DEP_2)
	v_and_b32_e32 v97, 0xfc, v97
	v_and_b32_e32 v161, 3, v21
	v_or_b32_e32 v20, v20, v21
	s_delay_alu instid0(VALU_DEP_2) | instskip(NEXT) | instid1(VALU_DEP_2)
	v_or3_b32 v97, v160, v97, v161
	v_cmp_ne_u32_e32 vcc_lo, 0, v20
	s_delay_alu instid0(VALU_DEP_2) | instskip(NEXT) | instid1(VALU_DEP_1)
	v_lshlrev_b32_e32 v21, 8, v97
	v_cndmask_b32_e32 v20, 0, v21, vcc_lo
.LBB2_128:                              ;   in Loop: Header=BB2_130 Depth=3
	s_or_b32 exec_lo, exec_lo, s21
.LBB2_129:                              ;   in Loop: Header=BB2_130 Depth=3
	s_delay_alu instid0(SALU_CYCLE_1) | instskip(SKIP_1) | instid1(VALU_DEP_2)
	s_or_b32 exec_lo, exec_lo, s10
	v_lshlrev_b32_e32 v19, 8, v19
	v_or_b32_e32 v20, v20, v151
	v_and_b32_e32 v21, 0xff, v83
	v_lshlrev_b32_e32 v22, 8, v22
	v_add_co_u32 v84, vcc_lo, v84, v102
	v_perm_b32 v19, v19, v150, 0xc0c0500
	v_lshlrev_b32_e32 v20, 16, v20
	v_sub_nc_u32_e32 v149, v149, v102
	v_add_co_ci_u32_e32 v85, vcc_lo, v85, v113, vcc_lo
	v_perm_b32 v17, v22, v17, 0xc0c0500
	s_delay_alu instid0(VALU_DEP_4) | instskip(SKIP_2) | instid1(VALU_DEP_2)
	v_or3_b32 v19, v20, v19, v148
	v_dual_mov_b32 v20, v18 :: v_dual_lshlrev_b32 v21, 16, v21
	v_add_nc_u32_e32 v82, v82, v1
	v_lshl_or_b32 v83, v96, 24, v21
	v_add_co_u32 v21, vcc_lo, v146, v86
	v_add_co_ci_u32_e32 v22, vcc_lo, v147, v87, vcc_lo
	v_cmp_gt_i32_e32 vcc_lo, 1, v149
	s_delay_alu instid0(VALU_DEP_4)
	v_or3_b32 v17, v83, v17, v148
	s_or_b32 s20, vcc_lo, s20
	global_store_b128 v[21:22], v[17:20], off
	s_and_not1_b32 exec_lo, exec_lo, s20
	s_cbranch_execz .LBB2_498
.LBB2_130:                              ;   Parent Loop BB2_32 Depth=1
                                        ;     Parent Loop BB2_85 Depth=2
                                        ; =>    This Loop Header: Depth=3
                                        ;         Child Loop BB2_138 Depth 4
	v_dual_mov_b32 v20, v85 :: v_dual_and_b32 v19, -4, v84
	v_min_u32_e32 v21, 8, v149
	v_dual_mov_b32 v151, 0 :: v_dual_and_b32 v22, 3, v84
	v_mov_b32_e32 v150, 0
	flat_load_b32 v17, v[19:20] glc
	v_add_co_u32 v21, s9, v22, v21
	s_delay_alu instid0(VALU_DEP_1) | instskip(SKIP_1) | instid1(VALU_DEP_1)
	v_add_co_ci_u32_e64 v22, null, 0, 0, s9
	s_mov_b32 s9, exec_lo
	v_cmpx_lt_u64_e32 4, v[21:22]
	s_cbranch_execz .LBB2_132
; %bb.131:                              ;   in Loop: Header=BB2_130 Depth=3
	flat_load_b32 v151, v[19:20] offset:4 glc
.LBB2_132:                              ;   in Loop: Header=BB2_130 Depth=3
	s_or_b32 exec_lo, exec_lo, s9
	s_delay_alu instid0(SALU_CYCLE_1)
	s_mov_b32 s9, exec_lo
	v_cmpx_lt_u64_e32 8, v[21:22]
	s_cbranch_execz .LBB2_134
; %bb.133:                              ;   in Loop: Header=BB2_130 Depth=3
	flat_load_b32 v150, v[19:20] offset:8 glc
.LBB2_134:                              ;   in Loop: Header=BB2_130 Depth=3
	s_or_b32 exec_lo, exec_lo, s9
	v_ashrrev_i32_e32 v83, 31, v82
	s_delay_alu instid0(VALU_DEP_1) | instskip(NEXT) | instid1(VALU_DEP_1)
	v_lshlrev_b64 v[86:87], 4, v[82:83]
	v_add_co_u32 v96, vcc_lo, v144, v86
	s_delay_alu instid0(VALU_DEP_2)
	v_add_co_ci_u32_e32 v97, vcc_lo, v145, v87, vcc_lo
	v_cmp_eq_u32_e32 vcc_lo, 0, v130
	;;#ASMSTART
	global_load_b128 v[19:22], v[96:97], off glc slc dlc
s_waitcnt vmcnt(0)

	;;#ASMEND
	s_and_saveexec_b32 s21, vcc_lo
	s_cbranch_execz .LBB2_148
; %bb.135:                              ;   in Loop: Header=BB2_130 Depth=3
	v_cmp_ne_u32_e64 s9, v54, v20
	v_cmp_ne_u32_e64 s10, v54, v22
	v_mov_b32_e32 v130, 0
	s_delay_alu instid0(VALU_DEP_2) | instskip(NEXT) | instid1(SALU_CYCLE_1)
	s_or_b32 s9, s9, s10
	s_and_saveexec_b32 s10, s9
	s_cbranch_execz .LBB2_147
; %bb.136:                              ;   in Loop: Header=BB2_130 Depth=3
	v_cndmask_b32_e64 v83, 0, 1, vcc_lo
	s_mov_b32 s22, 0
                                        ; implicit-def: $sgpr23
                                        ; implicit-def: $sgpr24
	s_branch .LBB2_138
.LBB2_137:                              ;   in Loop: Header=BB2_138 Depth=4
	s_or_b32 exec_lo, exec_lo, s25
	s_delay_alu instid0(SALU_CYCLE_1) | instskip(NEXT) | instid1(SALU_CYCLE_1)
	s_and_b32 s9, exec_lo, s9
	s_or_b32 s22, s9, s22
	s_and_not1_b32 s9, s23, exec_lo
	s_and_b32 s23, s24, exec_lo
	s_delay_alu instid0(SALU_CYCLE_1)
	s_or_b32 s23, s9, s23
	s_and_not1_b32 exec_lo, exec_lo, s22
	s_cbranch_execz .LBB2_146
.LBB2_138:                              ;   Parent Loop BB2_32 Depth=1
                                        ;     Parent Loop BB2_85 Depth=2
                                        ;       Parent Loop BB2_130 Depth=3
                                        ; =>      This Inner Loop Header: Depth=4
	s_delay_alu instid0(VALU_DEP_1)
	v_dual_mov_b32 v130, 0 :: v_dual_add_nc_u32 v83, 1, v83
	s_mov_b32 s9, -1
	s_mov_b32 s26, -1
	s_mov_b32 s25, exec_lo
	;;#ASMSTART
	global_load_b128 v[19:22], v[96:97], off glc slc dlc
s_waitcnt vmcnt(0)

	;;#ASMEND
	v_cmpx_eq_u32_e32 0x2710, v83
	s_cbranch_execz .LBB2_144
; %bb.139:                              ;   in Loop: Header=BB2_138 Depth=4
	s_cbranch_execnz .LBB2_959
; %bb.140:                              ;   in Loop: Header=BB2_138 Depth=4
	ds_load_b64 v[160:161], v0
	v_dual_mov_b32 v83, 0 :: v_dual_mov_b32 v130, 0
	s_mov_b32 s27, -1
	s_mov_b32 s26, exec_lo
	s_waitcnt vmcnt(0) lgkmcnt(0)
	s_waitcnt_vscnt null, 0x0
	flat_load_b32 v160, v[160:161] glc
	s_waitcnt vmcnt(0) lgkmcnt(0)
	buffer_gl1_inv
	buffer_gl0_inv
	v_cmpx_ne_u32_e32 0, v160
	s_cbranch_execz .LBB2_143
; %bb.141:                              ;   in Loop: Header=BB2_138 Depth=4
	ds_store_b32 v0, v160
	s_cbranch_execnz .LBB2_967
; %bb.142:                              ;   in Loop: Header=BB2_138 Depth=4
	v_mov_b32_e32 v130, 1
	s_xor_b32 s27, exec_lo, -1
.LBB2_143:                              ;   in Loop: Header=BB2_138 Depth=4
	s_or_b32 exec_lo, exec_lo, s26
	s_delay_alu instid0(SALU_CYCLE_1)
	s_or_not1_b32 s26, s27, exec_lo
.LBB2_144:                              ;   in Loop: Header=BB2_138 Depth=4
	s_or_b32 exec_lo, exec_lo, s25
	s_delay_alu instid0(SALU_CYCLE_1)
	s_or_b32 s24, s24, exec_lo
	s_and_saveexec_b32 s25, s26
	s_cbranch_execz .LBB2_137
; %bb.145:                              ;   in Loop: Header=BB2_138 Depth=4
	v_cmp_eq_u32_e32 vcc_lo, v54, v20
	v_cmp_eq_u32_e64 s9, v54, v22
	s_and_not1_b32 s24, s24, exec_lo
	s_delay_alu instid0(VALU_DEP_1) | instskip(NEXT) | instid1(SALU_CYCLE_1)
	s_and_b32 s9, vcc_lo, s9
	s_or_not1_b32 s9, s9, exec_lo
	s_branch .LBB2_137
.LBB2_146:                              ;   in Loop: Header=BB2_130 Depth=3
	s_or_b32 exec_lo, exec_lo, s22
	s_xor_b32 s9, s23, -1
	s_delay_alu instid0(SALU_CYCLE_1) | instskip(NEXT) | instid1(SALU_CYCLE_1)
	s_and_saveexec_b32 s22, s9
	s_xor_b32 s9, exec_lo, s22
	s_delay_alu instid0(SALU_CYCLE_1) | instskip(NEXT) | instid1(SALU_CYCLE_1)
	s_and_not1_saveexec_b32 s9, s9
	s_or_b32 exec_lo, exec_lo, s9
.LBB2_147:                              ;   in Loop: Header=BB2_130 Depth=3
	s_delay_alu instid0(SALU_CYCLE_1)
	s_or_b32 exec_lo, exec_lo, s10
.LBB2_148:                              ;   in Loop: Header=BB2_130 Depth=3
	s_delay_alu instid0(SALU_CYCLE_1) | instskip(SKIP_2) | instid1(VALU_DEP_1)
	s_or_b32 exec_lo, exec_lo, s21
	v_lshlrev_b32_e32 v20, 3, v84
                                        ; implicit-def: $vgpr22
	s_waitcnt vmcnt(0) lgkmcnt(0)
	v_alignbit_b32 v96, v151, v17, v20
	s_and_saveexec_b32 s9, s6
	s_delay_alu instid0(SALU_CYCLE_1)
	s_xor_b32 s9, exec_lo, s9
	s_cbranch_execz .LBB2_158
; %bb.149:                              ;   in Loop: Header=BB2_130 Depth=3
	v_and_b32_e32 v22, 0xff, v19
	s_mov_b32 s10, 0
	s_mov_b32 s22, exec_lo
                                        ; implicit-def: $sgpr21
	s_delay_alu instid0(VALU_DEP_1)
	v_cmpx_lt_i16_e32 0x7f, v22
	s_xor_b32 s22, exec_lo, s22
	s_cbranch_execnz .LBB2_370
; %bb.150:                              ;   in Loop: Header=BB2_130 Depth=3
	s_or_saveexec_b32 s22, s22
	v_mov_b32_e32 v17, s21
	s_xor_b32 exec_lo, exec_lo, s22
	s_cbranch_execnz .LBB2_373
.LBB2_151:                              ;   in Loop: Header=BB2_130 Depth=3
	s_or_b32 exec_lo, exec_lo, s22
	s_and_saveexec_b32 s21, s10
	s_cbranch_execz .LBB2_153
.LBB2_152:                              ;   in Loop: Header=BB2_130 Depth=3
	v_bfe_u32 v97, v19, 2, 5
	v_lshlrev_b32_e32 v160, 24, v19
	s_delay_alu instid0(VALU_DEP_2) | instskip(SKIP_1) | instid1(VALU_DEP_1)
	v_cmp_eq_u32_e32 vcc_lo, 0, v97
	v_and_b32_e32 v17, 3, v19
	v_clz_i32_u32_e32 v22, v17
	s_delay_alu instid0(VALU_DEP_1) | instskip(NEXT) | instid1(VALU_DEP_1)
	v_min_u32_e32 v22, 32, v22
	v_subrev_nc_u32_e32 v83, 29, v22
	v_sub_nc_u32_e32 v22, 30, v22
	s_delay_alu instid0(VALU_DEP_1) | instskip(NEXT) | instid1(VALU_DEP_1)
	v_dual_cndmask_b32 v22, v97, v22 :: v_dual_lshlrev_b32 v83, v83, v19
	v_and_b32_e32 v83, 3, v83
	s_delay_alu instid0(VALU_DEP_2) | instskip(NEXT) | instid1(VALU_DEP_2)
	v_lshl_add_u32 v22, v22, 23, 0x37800000
	v_cndmask_b32_e32 v17, v17, v83, vcc_lo
	v_and_b32_e32 v83, 0x80000000, v160
	s_delay_alu instid0(VALU_DEP_2) | instskip(NEXT) | instid1(VALU_DEP_1)
	v_lshlrev_b32_e32 v17, 21, v17
	v_or3_b32 v17, v83, v22, v17
.LBB2_153:                              ;   in Loop: Header=BB2_130 Depth=3
	s_or_b32 exec_lo, exec_lo, s21
	v_and_b32_e32 v83, 0xff, v96
	s_mov_b32 s10, 0
	s_mov_b32 s22, exec_lo
                                        ; implicit-def: $sgpr21
	s_delay_alu instid0(VALU_DEP_1)
	v_cmpx_lt_i16_e32 0x7f, v83
	s_xor_b32 s22, exec_lo, s22
	s_cbranch_execnz .LBB2_374
; %bb.154:                              ;   in Loop: Header=BB2_130 Depth=3
	s_or_saveexec_b32 s22, s22
	v_mov_b32_e32 v22, s21
	s_xor_b32 exec_lo, exec_lo, s22
	s_cbranch_execnz .LBB2_377
.LBB2_155:                              ;   in Loop: Header=BB2_130 Depth=3
	s_or_b32 exec_lo, exec_lo, s22
	s_and_saveexec_b32 s21, s10
	s_cbranch_execz .LBB2_157
.LBB2_156:                              ;   in Loop: Header=BB2_130 Depth=3
	v_bfe_u32 v160, v96, 2, 5
	s_delay_alu instid0(VALU_DEP_1) | instskip(SKIP_1) | instid1(VALU_DEP_1)
	v_cmp_eq_u32_e32 vcc_lo, 0, v160
	v_and_b32_e32 v22, 3, v96
	v_clz_i32_u32_e32 v83, v22
	s_delay_alu instid0(VALU_DEP_1) | instskip(NEXT) | instid1(VALU_DEP_1)
	v_min_u32_e32 v83, 32, v83
	v_subrev_nc_u32_e32 v97, 29, v83
	v_sub_nc_u32_e32 v83, 30, v83
	s_delay_alu instid0(VALU_DEP_2) | instskip(NEXT) | instid1(VALU_DEP_2)
	v_lshlrev_b32_e32 v97, v97, v96
	v_cndmask_b32_e32 v83, v160, v83, vcc_lo
	s_delay_alu instid0(VALU_DEP_2) | instskip(SKIP_1) | instid1(VALU_DEP_3)
	v_and_b32_e32 v97, 3, v97
	v_lshlrev_b32_e32 v161, 24, v96
	v_lshl_add_u32 v83, v83, 23, 0x37800000
	s_delay_alu instid0(VALU_DEP_3) | instskip(NEXT) | instid1(VALU_DEP_3)
	v_cndmask_b32_e32 v22, v22, v97, vcc_lo
	v_and_b32_e32 v97, 0x80000000, v161
	s_delay_alu instid0(VALU_DEP_2) | instskip(NEXT) | instid1(VALU_DEP_1)
	v_lshlrev_b32_e32 v22, 21, v22
	v_or3_b32 v22, v97, v83, v22
.LBB2_157:                              ;   in Loop: Header=BB2_130 Depth=3
	s_or_b32 exec_lo, exec_lo, s21
	s_delay_alu instid0(VALU_DEP_1) | instskip(NEXT) | instid1(VALU_DEP_1)
	v_dual_max_f32 v22, v22, v22 :: v_dual_max_f32 v17, v17, v17
	v_max_f32_e32 v22, v17, v22
.LBB2_158:                              ;   in Loop: Header=BB2_130 Depth=3
	s_and_not1_saveexec_b32 s9, s9
	s_cbranch_execz .LBB2_168
; %bb.159:                              ;   in Loop: Header=BB2_130 Depth=3
	v_and_b32_e32 v22, 0xff, v19
	s_mov_b32 s10, 0
	s_mov_b32 s22, exec_lo
                                        ; implicit-def: $sgpr21
	s_delay_alu instid0(VALU_DEP_1)
	v_cmpx_lt_i16_e32 0x7f, v22
	s_xor_b32 s22, exec_lo, s22
	s_cbranch_execnz .LBB2_378
; %bb.160:                              ;   in Loop: Header=BB2_130 Depth=3
	s_or_saveexec_b32 s22, s22
	v_mov_b32_e32 v17, s21
	s_xor_b32 exec_lo, exec_lo, s22
	s_cbranch_execnz .LBB2_381
.LBB2_161:                              ;   in Loop: Header=BB2_130 Depth=3
	s_or_b32 exec_lo, exec_lo, s22
	s_and_saveexec_b32 s21, s10
	s_cbranch_execz .LBB2_163
.LBB2_162:                              ;   in Loop: Header=BB2_130 Depth=3
	v_bfe_u32 v97, v19, 2, 5
	v_lshlrev_b32_e32 v160, 24, v19
	s_delay_alu instid0(VALU_DEP_2) | instskip(SKIP_1) | instid1(VALU_DEP_1)
	v_cmp_eq_u32_e32 vcc_lo, 0, v97
	v_and_b32_e32 v17, 3, v19
	v_clz_i32_u32_e32 v22, v17
	s_delay_alu instid0(VALU_DEP_1) | instskip(NEXT) | instid1(VALU_DEP_1)
	v_min_u32_e32 v22, 32, v22
	v_subrev_nc_u32_e32 v83, 29, v22
	v_sub_nc_u32_e32 v22, 30, v22
	s_delay_alu instid0(VALU_DEP_1) | instskip(NEXT) | instid1(VALU_DEP_1)
	v_dual_cndmask_b32 v22, v97, v22 :: v_dual_lshlrev_b32 v83, v83, v19
	v_and_b32_e32 v83, 3, v83
	s_delay_alu instid0(VALU_DEP_2) | instskip(NEXT) | instid1(VALU_DEP_2)
	v_lshl_add_u32 v22, v22, 23, 0x37800000
	v_cndmask_b32_e32 v17, v17, v83, vcc_lo
	v_and_b32_e32 v83, 0x80000000, v160
	s_delay_alu instid0(VALU_DEP_2) | instskip(NEXT) | instid1(VALU_DEP_1)
	v_lshlrev_b32_e32 v17, 21, v17
	v_or3_b32 v17, v83, v22, v17
.LBB2_163:                              ;   in Loop: Header=BB2_130 Depth=3
	s_or_b32 exec_lo, exec_lo, s21
	v_and_b32_e32 v83, 0xff, v96
	s_mov_b32 s10, 0
	s_mov_b32 s22, exec_lo
                                        ; implicit-def: $sgpr21
	s_delay_alu instid0(VALU_DEP_1)
	v_cmpx_lt_i16_e32 0x7f, v83
	s_xor_b32 s22, exec_lo, s22
	s_cbranch_execnz .LBB2_382
; %bb.164:                              ;   in Loop: Header=BB2_130 Depth=3
	s_or_saveexec_b32 s22, s22
	v_mov_b32_e32 v22, s21
	s_xor_b32 exec_lo, exec_lo, s22
	s_cbranch_execnz .LBB2_385
.LBB2_165:                              ;   in Loop: Header=BB2_130 Depth=3
	s_or_b32 exec_lo, exec_lo, s22
	s_and_saveexec_b32 s21, s10
	s_cbranch_execz .LBB2_167
.LBB2_166:                              ;   in Loop: Header=BB2_130 Depth=3
	v_bfe_u32 v160, v96, 2, 5
	s_delay_alu instid0(VALU_DEP_1) | instskip(SKIP_1) | instid1(VALU_DEP_1)
	v_cmp_eq_u32_e32 vcc_lo, 0, v160
	v_and_b32_e32 v22, 3, v96
	v_clz_i32_u32_e32 v83, v22
	s_delay_alu instid0(VALU_DEP_1) | instskip(NEXT) | instid1(VALU_DEP_1)
	v_min_u32_e32 v83, 32, v83
	v_subrev_nc_u32_e32 v97, 29, v83
	v_sub_nc_u32_e32 v83, 30, v83
	s_delay_alu instid0(VALU_DEP_2) | instskip(NEXT) | instid1(VALU_DEP_2)
	v_lshlrev_b32_e32 v97, v97, v96
	v_cndmask_b32_e32 v83, v160, v83, vcc_lo
	s_delay_alu instid0(VALU_DEP_2) | instskip(SKIP_1) | instid1(VALU_DEP_3)
	v_and_b32_e32 v97, 3, v97
	v_lshlrev_b32_e32 v161, 24, v96
	v_lshl_add_u32 v83, v83, 23, 0x37800000
	s_delay_alu instid0(VALU_DEP_3) | instskip(NEXT) | instid1(VALU_DEP_3)
	v_cndmask_b32_e32 v22, v22, v97, vcc_lo
	v_and_b32_e32 v97, 0x80000000, v161
	s_delay_alu instid0(VALU_DEP_2) | instskip(NEXT) | instid1(VALU_DEP_1)
	v_lshlrev_b32_e32 v22, 21, v22
	v_or3_b32 v22, v97, v83, v22
.LBB2_167:                              ;   in Loop: Header=BB2_130 Depth=3
	s_or_b32 exec_lo, exec_lo, s21
	s_delay_alu instid0(VALU_DEP_1) | instskip(NEXT) | instid1(VALU_DEP_1)
	v_dual_max_f32 v22, v22, v22 :: v_dual_max_f32 v17, v17, v17
	v_min_f32_e32 v22, v17, v22
.LBB2_168:                              ;   in Loop: Header=BB2_130 Depth=3
	s_or_b32 exec_lo, exec_lo, s9
	s_delay_alu instid0(VALU_DEP_1) | instskip(NEXT) | instid1(VALU_DEP_1)
	v_and_b32_e32 v17, 0x7f800000, v22
	v_cmp_ne_u32_e32 vcc_lo, 0x7f800000, v17
	v_mov_b32_e32 v17, 0x80
	s_and_saveexec_b32 s10, vcc_lo
	s_cbranch_execz .LBB2_176
; %bb.169:                              ;   in Loop: Header=BB2_130 Depth=3
	v_mov_b32_e32 v17, 0
	s_mov_b32 s21, exec_lo
	v_cmpx_ne_u32_e32 0, v22
	s_cbranch_execz .LBB2_175
; %bb.170:                              ;   in Loop: Header=BB2_130 Depth=3
	v_bfe_u32 v17, v22, 23, 8
	v_and_b32_e32 v83, 0x7fffff, v22
	s_delay_alu instid0(VALU_DEP_2) | instskip(SKIP_1) | instid1(VALU_DEP_3)
	v_sub_nc_u32_e32 v97, 0x70, v17
	v_cmp_gt_u32_e32 vcc_lo, 0x71, v17
	v_or_b32_e32 v160, 0x800000, v83
	s_delay_alu instid0(VALU_DEP_3) | instskip(SKIP_2) | instid1(VALU_DEP_3)
	v_cndmask_b32_e32 v97, 0, v97, vcc_lo
	v_cmp_eq_u32_e32 vcc_lo, 0, v17
	v_add_nc_u32_e32 v17, 0xffffff91, v17
	v_cndmask_b32_e64 v97, v97, 0x6f, vcc_lo
	v_cndmask_b32_e32 v83, v160, v83, vcc_lo
	s_delay_alu instid0(VALU_DEP_3) | instskip(NEXT) | instid1(VALU_DEP_3)
	v_cndmask_b32_e64 v17, v17, 0xffffff92, vcc_lo
	v_lshl_add_u32 v160, 0x200000, v97, -1
	s_delay_alu instid0(VALU_DEP_3) | instskip(SKIP_1) | instid1(VALU_DEP_4)
	v_lshrrev_b32_e32 v161, v97, v83
	v_lshlrev_b32_e64 v163, v97, 0x100000
	v_add_nc_u32_e32 v97, v97, v17
	s_delay_alu instid0(VALU_DEP_4) | instskip(NEXT) | instid1(VALU_DEP_4)
	v_and_b32_e32 v83, v160, v83
	v_bfe_u32 v162, v161, 21, 1
	s_delay_alu instid0(VALU_DEP_2) | instskip(NEXT) | instid1(VALU_DEP_2)
	v_cmp_eq_u32_e64 s9, v83, v163
	v_add_nc_u32_e32 v160, -1, v162
	s_delay_alu instid0(VALU_DEP_1) | instskip(SKIP_2) | instid1(VALU_DEP_2)
	v_cndmask_b32_e64 v83, 0, v160, s9
	v_lshrrev_b32_e32 v160, 23, v161
	s_mov_b32 s9, exec_lo
	v_add_nc_u32_e32 v83, v83, v161
	s_delay_alu instid0(VALU_DEP_2) | instskip(NEXT) | instid1(VALU_DEP_2)
	v_xor_b32_e32 v160, 1, v160
	v_and_b32_e32 v17, 0x1fffff, v83
	s_delay_alu instid0(VALU_DEP_1) | instskip(NEXT) | instid1(VALU_DEP_3)
	v_add_nc_u32_e32 v83, v17, v161
                                        ; implicit-def: $vgpr17
	v_cmpx_ne_u32_e64 v97, v160
	s_xor_b32 s9, exec_lo, s9
; %bb.171:                              ;   in Loop: Header=BB2_130 Depth=3
	s_delay_alu instid0(VALU_DEP_2) | instskip(SKIP_2) | instid1(VALU_DEP_2)
	v_cmp_lt_u32_e32 vcc_lo, 0xffffff, v83
	v_sub_nc_u32_e32 v17, v97, v160
	v_cndmask_b32_e64 v97, 0, 1, vcc_lo
	v_add_co_ci_u32_e32 v17, vcc_lo, 0, v17, vcc_lo
	s_delay_alu instid0(VALU_DEP_2)
	v_lshrrev_b32_e32 v83, v97, v83
; %bb.172:                              ;   in Loop: Header=BB2_130 Depth=3
	s_and_not1_saveexec_b32 s9, s9
; %bb.173:                              ;   in Loop: Header=BB2_130 Depth=3
	s_delay_alu instid0(VALU_DEP_1)
	v_bfe_u32 v17, v83, 23, 1
; %bb.174:                              ;   in Loop: Header=BB2_130 Depth=3
	s_or_b32 exec_lo, exec_lo, s9
	v_lshrrev_b32_e32 v83, 21, v83
	s_delay_alu instid0(VALU_DEP_2) | instskip(SKIP_2) | instid1(VALU_DEP_2)
	v_cmp_gt_i32_e32 vcc_lo, 32, v17
	v_lshrrev_b32_e32 v22, 24, v22
	v_min_i32_e32 v97, 31, v17
	v_dual_cndmask_b32 v83, 3, v83 :: v_dual_and_b32 v22, 0x80, v22
	s_delay_alu instid0(VALU_DEP_2) | instskip(NEXT) | instid1(VALU_DEP_2)
	v_lshlrev_b32_e32 v97, 2, v97
	v_or_b32_e32 v17, v17, v83
	s_delay_alu instid0(VALU_DEP_1) | instskip(SKIP_1) | instid1(VALU_DEP_1)
	v_cmp_ne_u32_e32 vcc_lo, 0, v17
	v_and_b32_e32 v160, 3, v83
	v_or3_b32 v22, v97, v22, v160
	s_delay_alu instid0(VALU_DEP_1)
	v_cndmask_b32_e32 v17, 0, v22, vcc_lo
.LBB2_175:                              ;   in Loop: Header=BB2_130 Depth=3
	s_or_b32 exec_lo, exec_lo, s21
.LBB2_176:                              ;   in Loop: Header=BB2_130 Depth=3
	s_delay_alu instid0(SALU_CYCLE_1) | instskip(SKIP_3) | instid1(SALU_CYCLE_1)
	s_or_b32 exec_lo, exec_lo, s10
	v_lshrrev_b16 v83, 8, v19
	v_lshrrev_b16 v22, 8, v96
                                        ; implicit-def: $vgpr97
	s_and_saveexec_b32 s9, s6
	s_xor_b32 s9, exec_lo, s9
	s_cbranch_execz .LBB2_186
; %bb.177:                              ;   in Loop: Header=BB2_130 Depth=3
	s_mov_b32 s10, 0
	s_mov_b32 s22, exec_lo
                                        ; implicit-def: $sgpr21
	v_cmpx_lt_i16_e32 0x7f, v83
	s_xor_b32 s22, exec_lo, s22
	s_cbranch_execnz .LBB2_386
; %bb.178:                              ;   in Loop: Header=BB2_130 Depth=3
	s_or_saveexec_b32 s22, s22
	v_mov_b32_e32 v97, s21
	s_xor_b32 exec_lo, exec_lo, s22
	s_cbranch_execnz .LBB2_389
.LBB2_179:                              ;   in Loop: Header=BB2_130 Depth=3
	s_or_b32 exec_lo, exec_lo, s22
	s_and_saveexec_b32 s21, s10
	s_cbranch_execz .LBB2_181
.LBB2_180:                              ;   in Loop: Header=BB2_130 Depth=3
	v_and_b32_e32 v83, 0xffff, v83
	s_delay_alu instid0(VALU_DEP_1) | instskip(NEXT) | instid1(VALU_DEP_1)
	v_and_b32_e32 v97, 3, v83
	v_clz_i32_u32_e32 v160, v97
	s_delay_alu instid0(VALU_DEP_1) | instskip(NEXT) | instid1(VALU_DEP_1)
	v_min_u32_e32 v160, 32, v160
	v_subrev_nc_u32_e32 v161, 29, v160
	v_sub_nc_u32_e32 v160, 30, v160
	s_delay_alu instid0(VALU_DEP_2) | instskip(SKIP_1) | instid1(VALU_DEP_2)
	v_lshlrev_b32_e32 v161, v161, v83
	v_bfe_u32 v83, v83, 2, 5
	v_and_b32_e32 v161, 3, v161
	s_delay_alu instid0(VALU_DEP_2) | instskip(SKIP_1) | instid1(VALU_DEP_1)
	v_cmp_eq_u32_e32 vcc_lo, 0, v83
	v_dual_cndmask_b32 v83, v83, v160 :: v_dual_lshlrev_b32 v162, 16, v19
	v_dual_cndmask_b32 v97, v97, v161 :: v_dual_and_b32 v160, 0x80000000, v162
	s_delay_alu instid0(VALU_DEP_2) | instskip(NEXT) | instid1(VALU_DEP_2)
	v_lshl_add_u32 v83, v83, 23, 0x37800000
	v_lshlrev_b32_e32 v97, 21, v97
	s_delay_alu instid0(VALU_DEP_1)
	v_or3_b32 v97, v160, v83, v97
.LBB2_181:                              ;   in Loop: Header=BB2_130 Depth=3
	s_or_b32 exec_lo, exec_lo, s21
	s_mov_b32 s10, 0
	s_mov_b32 s22, exec_lo
                                        ; implicit-def: $sgpr21
	v_cmpx_lt_i16_e32 0x7f, v22
	s_xor_b32 s22, exec_lo, s22
	s_cbranch_execnz .LBB2_390
; %bb.182:                              ;   in Loop: Header=BB2_130 Depth=3
	s_or_saveexec_b32 s22, s22
	v_mov_b32_e32 v83, s21
	s_xor_b32 exec_lo, exec_lo, s22
	s_cbranch_execnz .LBB2_393
.LBB2_183:                              ;   in Loop: Header=BB2_130 Depth=3
	s_or_b32 exec_lo, exec_lo, s22
	s_and_saveexec_b32 s21, s10
	s_cbranch_execz .LBB2_185
.LBB2_184:                              ;   in Loop: Header=BB2_130 Depth=3
	v_and_b32_e32 v22, 0xffff, v22
	v_lshlrev_b32_e32 v162, 16, v96
	s_delay_alu instid0(VALU_DEP_2) | instskip(NEXT) | instid1(VALU_DEP_1)
	v_and_b32_e32 v83, 3, v22
	v_clz_i32_u32_e32 v160, v83
	s_delay_alu instid0(VALU_DEP_1) | instskip(NEXT) | instid1(VALU_DEP_1)
	v_min_u32_e32 v160, 32, v160
	v_subrev_nc_u32_e32 v161, 29, v160
	v_sub_nc_u32_e32 v160, 30, v160
	s_delay_alu instid0(VALU_DEP_2) | instskip(SKIP_1) | instid1(VALU_DEP_2)
	v_lshlrev_b32_e32 v161, v161, v22
	v_bfe_u32 v22, v22, 2, 5
	v_and_b32_e32 v161, 3, v161
	s_delay_alu instid0(VALU_DEP_2) | instskip(NEXT) | instid1(VALU_DEP_2)
	v_cmp_eq_u32_e32 vcc_lo, 0, v22
	v_dual_cndmask_b32 v22, v22, v160 :: v_dual_cndmask_b32 v83, v83, v161
	v_and_b32_e32 v160, 0x80000000, v162
	s_delay_alu instid0(VALU_DEP_2) | instskip(NEXT) | instid1(VALU_DEP_3)
	v_lshl_add_u32 v22, v22, 23, 0x37800000
	v_lshlrev_b32_e32 v83, 21, v83
	s_delay_alu instid0(VALU_DEP_1)
	v_or3_b32 v83, v160, v22, v83
.LBB2_185:                              ;   in Loop: Header=BB2_130 Depth=3
	s_or_b32 exec_lo, exec_lo, s21
	s_delay_alu instid0(VALU_DEP_1) | instskip(NEXT) | instid1(VALU_DEP_1)
	v_dual_max_f32 v22, v83, v83 :: v_dual_max_f32 v83, v97, v97
	v_max_f32_e32 v97, v83, v22
                                        ; implicit-def: $vgpr22
                                        ; implicit-def: $vgpr83
.LBB2_186:                              ;   in Loop: Header=BB2_130 Depth=3
	s_and_not1_saveexec_b32 s9, s9
	s_cbranch_execz .LBB2_196
; %bb.187:                              ;   in Loop: Header=BB2_130 Depth=3
	s_mov_b32 s10, 0
	s_mov_b32 s22, exec_lo
                                        ; implicit-def: $sgpr21
	v_cmpx_lt_i16_e32 0x7f, v83
	s_xor_b32 s22, exec_lo, s22
	s_cbranch_execnz .LBB2_394
; %bb.188:                              ;   in Loop: Header=BB2_130 Depth=3
	s_or_saveexec_b32 s22, s22
	v_mov_b32_e32 v97, s21
	s_xor_b32 exec_lo, exec_lo, s22
	s_cbranch_execnz .LBB2_397
.LBB2_189:                              ;   in Loop: Header=BB2_130 Depth=3
	s_or_b32 exec_lo, exec_lo, s22
	s_and_saveexec_b32 s21, s10
	s_cbranch_execz .LBB2_191
.LBB2_190:                              ;   in Loop: Header=BB2_130 Depth=3
	v_and_b32_e32 v83, 0xffff, v83
	s_delay_alu instid0(VALU_DEP_1) | instskip(NEXT) | instid1(VALU_DEP_1)
	v_and_b32_e32 v97, 3, v83
	v_clz_i32_u32_e32 v160, v97
	s_delay_alu instid0(VALU_DEP_1) | instskip(NEXT) | instid1(VALU_DEP_1)
	v_min_u32_e32 v160, 32, v160
	v_subrev_nc_u32_e32 v161, 29, v160
	v_sub_nc_u32_e32 v160, 30, v160
	s_delay_alu instid0(VALU_DEP_2) | instskip(SKIP_1) | instid1(VALU_DEP_2)
	v_lshlrev_b32_e32 v161, v161, v83
	v_bfe_u32 v83, v83, 2, 5
	v_and_b32_e32 v161, 3, v161
	s_delay_alu instid0(VALU_DEP_2) | instskip(SKIP_1) | instid1(VALU_DEP_1)
	v_cmp_eq_u32_e32 vcc_lo, 0, v83
	v_dual_cndmask_b32 v83, v83, v160 :: v_dual_lshlrev_b32 v162, 16, v19
	v_dual_cndmask_b32 v97, v97, v161 :: v_dual_and_b32 v160, 0x80000000, v162
	s_delay_alu instid0(VALU_DEP_2) | instskip(NEXT) | instid1(VALU_DEP_2)
	v_lshl_add_u32 v83, v83, 23, 0x37800000
	v_lshlrev_b32_e32 v97, 21, v97
	s_delay_alu instid0(VALU_DEP_1)
	v_or3_b32 v97, v160, v83, v97
.LBB2_191:                              ;   in Loop: Header=BB2_130 Depth=3
	s_or_b32 exec_lo, exec_lo, s21
	s_mov_b32 s10, 0
	s_mov_b32 s22, exec_lo
                                        ; implicit-def: $sgpr21
	v_cmpx_lt_i16_e32 0x7f, v22
	s_xor_b32 s22, exec_lo, s22
	s_cbranch_execnz .LBB2_398
; %bb.192:                              ;   in Loop: Header=BB2_130 Depth=3
	s_or_saveexec_b32 s22, s22
	v_mov_b32_e32 v83, s21
	s_xor_b32 exec_lo, exec_lo, s22
	s_cbranch_execnz .LBB2_401
.LBB2_193:                              ;   in Loop: Header=BB2_130 Depth=3
	s_or_b32 exec_lo, exec_lo, s22
	s_and_saveexec_b32 s21, s10
	s_cbranch_execz .LBB2_195
.LBB2_194:                              ;   in Loop: Header=BB2_130 Depth=3
	v_and_b32_e32 v22, 0xffff, v22
	v_lshlrev_b32_e32 v162, 16, v96
	s_delay_alu instid0(VALU_DEP_2) | instskip(NEXT) | instid1(VALU_DEP_1)
	v_and_b32_e32 v83, 3, v22
	v_clz_i32_u32_e32 v160, v83
	s_delay_alu instid0(VALU_DEP_1) | instskip(NEXT) | instid1(VALU_DEP_1)
	v_min_u32_e32 v160, 32, v160
	v_subrev_nc_u32_e32 v161, 29, v160
	v_sub_nc_u32_e32 v160, 30, v160
	s_delay_alu instid0(VALU_DEP_2) | instskip(SKIP_1) | instid1(VALU_DEP_2)
	v_lshlrev_b32_e32 v161, v161, v22
	v_bfe_u32 v22, v22, 2, 5
	v_and_b32_e32 v161, 3, v161
	s_delay_alu instid0(VALU_DEP_2) | instskip(NEXT) | instid1(VALU_DEP_2)
	v_cmp_eq_u32_e32 vcc_lo, 0, v22
	v_dual_cndmask_b32 v22, v22, v160 :: v_dual_cndmask_b32 v83, v83, v161
	v_and_b32_e32 v160, 0x80000000, v162
	s_delay_alu instid0(VALU_DEP_2) | instskip(NEXT) | instid1(VALU_DEP_3)
	v_lshl_add_u32 v22, v22, 23, 0x37800000
	v_lshlrev_b32_e32 v83, 21, v83
	s_delay_alu instid0(VALU_DEP_1)
	v_or3_b32 v83, v160, v22, v83
.LBB2_195:                              ;   in Loop: Header=BB2_130 Depth=3
	s_or_b32 exec_lo, exec_lo, s21
	s_delay_alu instid0(VALU_DEP_1) | instskip(NEXT) | instid1(VALU_DEP_1)
	v_dual_max_f32 v22, v83, v83 :: v_dual_max_f32 v83, v97, v97
	v_min_f32_e32 v97, v83, v22
.LBB2_196:                              ;   in Loop: Header=BB2_130 Depth=3
	s_or_b32 exec_lo, exec_lo, s9
	s_delay_alu instid0(VALU_DEP_1) | instskip(NEXT) | instid1(VALU_DEP_1)
	v_and_b32_e32 v22, 0x7f800000, v97
	v_cmp_ne_u32_e32 vcc_lo, 0x7f800000, v22
	v_mov_b32_e32 v22, 0x80
	s_and_saveexec_b32 s10, vcc_lo
	s_cbranch_execz .LBB2_204
; %bb.197:                              ;   in Loop: Header=BB2_130 Depth=3
	v_mov_b32_e32 v22, 0
	s_mov_b32 s21, exec_lo
	v_cmpx_ne_u32_e32 0, v97
	s_cbranch_execz .LBB2_203
; %bb.198:                              ;   in Loop: Header=BB2_130 Depth=3
	v_bfe_u32 v22, v97, 23, 8
	s_delay_alu instid0(VALU_DEP_1) | instskip(SKIP_1) | instid1(VALU_DEP_2)
	v_sub_nc_u32_e32 v160, 0x70, v22
	v_cmp_gt_u32_e32 vcc_lo, 0x71, v22
	v_dual_cndmask_b32 v160, 0, v160 :: v_dual_and_b32 v83, 0x7fffff, v97
	s_delay_alu instid0(VALU_DEP_1) | instskip(SKIP_2) | instid1(VALU_DEP_4)
	v_or_b32_e32 v161, 0x800000, v83
	v_cmp_eq_u32_e32 vcc_lo, 0, v22
	v_add_nc_u32_e32 v22, 0xffffff91, v22
	v_cndmask_b32_e64 v160, v160, 0x6f, vcc_lo
	s_delay_alu instid0(VALU_DEP_4) | instskip(NEXT) | instid1(VALU_DEP_3)
	v_cndmask_b32_e32 v83, v161, v83, vcc_lo
	v_cndmask_b32_e64 v22, v22, 0xffffff92, vcc_lo
	s_delay_alu instid0(VALU_DEP_3) | instskip(NEXT) | instid1(VALU_DEP_3)
	v_lshl_add_u32 v161, 0x200000, v160, -1
	v_lshrrev_b32_e32 v162, v160, v83
	v_lshlrev_b32_e64 v164, v160, 0x100000
	s_delay_alu instid0(VALU_DEP_4) | instskip(NEXT) | instid1(VALU_DEP_4)
	v_add_nc_u32_e32 v160, v160, v22
	v_and_b32_e32 v83, v161, v83
	s_delay_alu instid0(VALU_DEP_4) | instskip(NEXT) | instid1(VALU_DEP_2)
	v_bfe_u32 v163, v162, 21, 1
	v_cmp_eq_u32_e64 s9, v83, v164
	s_delay_alu instid0(VALU_DEP_2) | instskip(NEXT) | instid1(VALU_DEP_1)
	v_add_nc_u32_e32 v161, -1, v163
	v_cndmask_b32_e64 v83, 0, v161, s9
	v_lshrrev_b32_e32 v161, 23, v162
	s_mov_b32 s9, exec_lo
	s_delay_alu instid0(VALU_DEP_2) | instskip(NEXT) | instid1(VALU_DEP_2)
	v_add_nc_u32_e32 v83, v83, v162
	v_xor_b32_e32 v161, 1, v161
	s_delay_alu instid0(VALU_DEP_2) | instskip(NEXT) | instid1(VALU_DEP_1)
	v_and_b32_e32 v22, 0x1fffff, v83
	v_add_nc_u32_e32 v83, v22, v162
                                        ; implicit-def: $vgpr22
	s_delay_alu instid0(VALU_DEP_3)
	v_cmpx_ne_u32_e64 v160, v161
	s_xor_b32 s9, exec_lo, s9
; %bb.199:                              ;   in Loop: Header=BB2_130 Depth=3
	s_delay_alu instid0(VALU_DEP_2) | instskip(SKIP_2) | instid1(VALU_DEP_2)
	v_cmp_lt_u32_e32 vcc_lo, 0xffffff, v83
	v_sub_nc_u32_e32 v22, v160, v161
	v_cndmask_b32_e64 v160, 0, 1, vcc_lo
	v_add_co_ci_u32_e32 v22, vcc_lo, 0, v22, vcc_lo
	s_delay_alu instid0(VALU_DEP_2)
	v_lshrrev_b32_e32 v83, v160, v83
; %bb.200:                              ;   in Loop: Header=BB2_130 Depth=3
	s_and_not1_saveexec_b32 s9, s9
; %bb.201:                              ;   in Loop: Header=BB2_130 Depth=3
	s_delay_alu instid0(VALU_DEP_1)
	v_bfe_u32 v22, v83, 23, 1
; %bb.202:                              ;   in Loop: Header=BB2_130 Depth=3
	s_or_b32 exec_lo, exec_lo, s9
	v_lshrrev_b32_e32 v83, 21, v83
	s_delay_alu instid0(VALU_DEP_2) | instskip(SKIP_2) | instid1(VALU_DEP_2)
	v_cmp_gt_i32_e32 vcc_lo, 32, v22
	v_min_i32_e32 v160, 31, v22
	v_lshrrev_b32_e32 v97, 24, v97
	v_dual_cndmask_b32 v83, 3, v83 :: v_dual_lshlrev_b32 v160, 2, v160
	s_delay_alu instid0(VALU_DEP_1) | instskip(SKIP_1) | instid1(VALU_DEP_2)
	v_or_b32_e32 v22, v22, v83
	v_and_b32_e32 v161, 3, v83
	v_cmp_ne_u32_e32 vcc_lo, 0, v22
	v_and_b32_e32 v97, 0x80, v97
	s_delay_alu instid0(VALU_DEP_1) | instskip(NEXT) | instid1(VALU_DEP_1)
	v_or3_b32 v83, v160, v97, v161
	v_cndmask_b32_e32 v22, 0, v83, vcc_lo
.LBB2_203:                              ;   in Loop: Header=BB2_130 Depth=3
	s_or_b32 exec_lo, exec_lo, s21
.LBB2_204:                              ;   in Loop: Header=BB2_130 Depth=3
	s_delay_alu instid0(SALU_CYCLE_1) | instskip(SKIP_3) | instid1(SALU_CYCLE_1)
	s_or_b32 exec_lo, exec_lo, s10
	v_lshrrev_b32_e32 v97, 16, v19
	v_lshrrev_b32_e32 v83, 16, v96
                                        ; implicit-def: $vgpr160
	s_and_saveexec_b32 s9, s6
	s_xor_b32 s9, exec_lo, s9
	s_cbranch_execz .LBB2_214
; %bb.205:                              ;   in Loop: Header=BB2_130 Depth=3
	v_and_b32_e32 v161, 0xff, v97
	s_mov_b32 s10, 0
	s_mov_b32 s22, exec_lo
                                        ; implicit-def: $sgpr21
	s_delay_alu instid0(VALU_DEP_1)
	v_cmpx_lt_i16_e64 0x7f, v161
	s_xor_b32 s22, exec_lo, s22
	s_cbranch_execnz .LBB2_402
; %bb.206:                              ;   in Loop: Header=BB2_130 Depth=3
	s_or_saveexec_b32 s22, s22
	v_mov_b32_e32 v160, s21
	s_xor_b32 exec_lo, exec_lo, s22
	s_cbranch_execnz .LBB2_405
.LBB2_207:                              ;   in Loop: Header=BB2_130 Depth=3
	s_or_b32 exec_lo, exec_lo, s22
	s_and_saveexec_b32 s21, s10
	s_cbranch_execz .LBB2_209
.LBB2_208:                              ;   in Loop: Header=BB2_130 Depth=3
	v_bfe_u32 v160, v19, 16, 2
	v_bfe_u32 v163, v19, 18, 5
	s_delay_alu instid0(VALU_DEP_2) | instskip(NEXT) | instid1(VALU_DEP_2)
	v_clz_i32_u32_e32 v161, v160
	v_cmp_eq_u32_e32 vcc_lo, 0, v163
	s_delay_alu instid0(VALU_DEP_2) | instskip(NEXT) | instid1(VALU_DEP_1)
	v_min_u32_e32 v161, 32, v161
	v_subrev_nc_u32_e32 v162, 29, v161
	v_sub_nc_u32_e32 v161, 30, v161
	s_delay_alu instid0(VALU_DEP_2) | instskip(NEXT) | instid1(VALU_DEP_1)
	v_lshlrev_b32_e32 v162, v162, v97
	v_dual_cndmask_b32 v161, v163, v161 :: v_dual_and_b32 v162, 3, v162
	v_lshlrev_b32_e32 v97, 24, v97
	s_delay_alu instid0(VALU_DEP_2) | instskip(NEXT) | instid1(VALU_DEP_2)
	v_lshl_add_u32 v161, v161, 23, 0x37800000
	v_dual_cndmask_b32 v160, v160, v162 :: v_dual_and_b32 v97, 0x80000000, v97
	s_delay_alu instid0(VALU_DEP_1) | instskip(NEXT) | instid1(VALU_DEP_1)
	v_lshlrev_b32_e32 v160, 21, v160
	v_or3_b32 v160, v97, v161, v160
.LBB2_209:                              ;   in Loop: Header=BB2_130 Depth=3
	s_or_b32 exec_lo, exec_lo, s21
	v_and_b32_e32 v161, 0xff, v83
	s_mov_b32 s10, 0
	s_mov_b32 s22, exec_lo
                                        ; implicit-def: $sgpr21
	s_delay_alu instid0(VALU_DEP_1)
	v_cmpx_lt_i16_e64 0x7f, v161
	s_xor_b32 s22, exec_lo, s22
	s_cbranch_execnz .LBB2_406
; %bb.210:                              ;   in Loop: Header=BB2_130 Depth=3
	s_or_saveexec_b32 s22, s22
	v_mov_b32_e32 v97, s21
	s_xor_b32 exec_lo, exec_lo, s22
	s_cbranch_execnz .LBB2_409
.LBB2_211:                              ;   in Loop: Header=BB2_130 Depth=3
	s_or_b32 exec_lo, exec_lo, s22
	s_and_saveexec_b32 s21, s10
	s_cbranch_execz .LBB2_213
.LBB2_212:                              ;   in Loop: Header=BB2_130 Depth=3
	v_bfe_u32 v97, v96, 16, 2
	v_bfe_u32 v163, v96, 18, 5
	s_delay_alu instid0(VALU_DEP_2) | instskip(NEXT) | instid1(VALU_DEP_2)
	v_clz_i32_u32_e32 v161, v97
	v_cmp_eq_u32_e32 vcc_lo, 0, v163
	s_delay_alu instid0(VALU_DEP_2) | instskip(NEXT) | instid1(VALU_DEP_1)
	v_min_u32_e32 v161, 32, v161
	v_subrev_nc_u32_e32 v162, 29, v161
	v_sub_nc_u32_e32 v161, 30, v161
	s_delay_alu instid0(VALU_DEP_1) | instskip(SKIP_1) | instid1(VALU_DEP_2)
	v_dual_cndmask_b32 v161, v163, v161 :: v_dual_lshlrev_b32 v162, v162, v83
	v_lshlrev_b32_e32 v83, 24, v83
	v_and_b32_e32 v162, 3, v162
	s_delay_alu instid0(VALU_DEP_3) | instskip(NEXT) | instid1(VALU_DEP_3)
	v_lshl_add_u32 v161, v161, 23, 0x37800000
	v_and_b32_e32 v83, 0x80000000, v83
	s_delay_alu instid0(VALU_DEP_3) | instskip(NEXT) | instid1(VALU_DEP_1)
	v_cndmask_b32_e32 v97, v97, v162, vcc_lo
	v_lshlrev_b32_e32 v97, 21, v97
	s_delay_alu instid0(VALU_DEP_1)
	v_or3_b32 v97, v83, v161, v97
.LBB2_213:                              ;   in Loop: Header=BB2_130 Depth=3
	s_or_b32 exec_lo, exec_lo, s21
	s_delay_alu instid0(VALU_DEP_1) | instskip(SKIP_1) | instid1(VALU_DEP_1)
	v_max_f32_e32 v83, v97, v97
	v_max_f32_e32 v97, v160, v160
	;; [unrolled: 1-line block ×3, first 2 shown]
                                        ; implicit-def: $vgpr83
                                        ; implicit-def: $vgpr97
.LBB2_214:                              ;   in Loop: Header=BB2_130 Depth=3
	s_and_not1_saveexec_b32 s9, s9
	s_cbranch_execz .LBB2_224
; %bb.215:                              ;   in Loop: Header=BB2_130 Depth=3
	v_and_b32_e32 v161, 0xff, v97
	s_mov_b32 s10, 0
	s_mov_b32 s22, exec_lo
                                        ; implicit-def: $sgpr21
	s_delay_alu instid0(VALU_DEP_1)
	v_cmpx_lt_i16_e64 0x7f, v161
	s_xor_b32 s22, exec_lo, s22
	s_cbranch_execnz .LBB2_410
; %bb.216:                              ;   in Loop: Header=BB2_130 Depth=3
	s_or_saveexec_b32 s22, s22
	v_mov_b32_e32 v160, s21
	s_xor_b32 exec_lo, exec_lo, s22
	s_cbranch_execnz .LBB2_413
.LBB2_217:                              ;   in Loop: Header=BB2_130 Depth=3
	s_or_b32 exec_lo, exec_lo, s22
	s_and_saveexec_b32 s21, s10
	s_cbranch_execz .LBB2_219
.LBB2_218:                              ;   in Loop: Header=BB2_130 Depth=3
	v_bfe_u32 v160, v19, 16, 2
	v_bfe_u32 v163, v19, 18, 5
	s_delay_alu instid0(VALU_DEP_2) | instskip(NEXT) | instid1(VALU_DEP_2)
	v_clz_i32_u32_e32 v161, v160
	v_cmp_eq_u32_e32 vcc_lo, 0, v163
	s_delay_alu instid0(VALU_DEP_2) | instskip(NEXT) | instid1(VALU_DEP_1)
	v_min_u32_e32 v161, 32, v161
	v_subrev_nc_u32_e32 v162, 29, v161
	v_sub_nc_u32_e32 v161, 30, v161
	s_delay_alu instid0(VALU_DEP_2) | instskip(NEXT) | instid1(VALU_DEP_1)
	v_lshlrev_b32_e32 v162, v162, v97
	v_dual_cndmask_b32 v161, v163, v161 :: v_dual_and_b32 v162, 3, v162
	v_lshlrev_b32_e32 v97, 24, v97
	s_delay_alu instid0(VALU_DEP_2) | instskip(NEXT) | instid1(VALU_DEP_2)
	v_lshl_add_u32 v161, v161, 23, 0x37800000
	v_dual_cndmask_b32 v160, v160, v162 :: v_dual_and_b32 v97, 0x80000000, v97
	s_delay_alu instid0(VALU_DEP_1) | instskip(NEXT) | instid1(VALU_DEP_1)
	v_lshlrev_b32_e32 v160, 21, v160
	v_or3_b32 v160, v97, v161, v160
.LBB2_219:                              ;   in Loop: Header=BB2_130 Depth=3
	s_or_b32 exec_lo, exec_lo, s21
	v_and_b32_e32 v161, 0xff, v83
	s_mov_b32 s10, 0
	s_mov_b32 s22, exec_lo
                                        ; implicit-def: $sgpr21
	s_delay_alu instid0(VALU_DEP_1)
	v_cmpx_lt_i16_e64 0x7f, v161
	s_xor_b32 s22, exec_lo, s22
	s_cbranch_execnz .LBB2_414
; %bb.220:                              ;   in Loop: Header=BB2_130 Depth=3
	s_or_saveexec_b32 s22, s22
	v_mov_b32_e32 v97, s21
	s_xor_b32 exec_lo, exec_lo, s22
	s_cbranch_execnz .LBB2_417
.LBB2_221:                              ;   in Loop: Header=BB2_130 Depth=3
	s_or_b32 exec_lo, exec_lo, s22
	s_and_saveexec_b32 s21, s10
	s_cbranch_execz .LBB2_223
.LBB2_222:                              ;   in Loop: Header=BB2_130 Depth=3
	v_bfe_u32 v97, v96, 16, 2
	v_bfe_u32 v163, v96, 18, 5
	s_delay_alu instid0(VALU_DEP_2) | instskip(NEXT) | instid1(VALU_DEP_2)
	v_clz_i32_u32_e32 v161, v97
	v_cmp_eq_u32_e32 vcc_lo, 0, v163
	s_delay_alu instid0(VALU_DEP_2) | instskip(NEXT) | instid1(VALU_DEP_1)
	v_min_u32_e32 v161, 32, v161
	v_subrev_nc_u32_e32 v162, 29, v161
	v_sub_nc_u32_e32 v161, 30, v161
	s_delay_alu instid0(VALU_DEP_1) | instskip(SKIP_1) | instid1(VALU_DEP_2)
	v_dual_cndmask_b32 v161, v163, v161 :: v_dual_lshlrev_b32 v162, v162, v83
	v_lshlrev_b32_e32 v83, 24, v83
	v_and_b32_e32 v162, 3, v162
	s_delay_alu instid0(VALU_DEP_3) | instskip(NEXT) | instid1(VALU_DEP_3)
	v_lshl_add_u32 v161, v161, 23, 0x37800000
	v_and_b32_e32 v83, 0x80000000, v83
	s_delay_alu instid0(VALU_DEP_3) | instskip(NEXT) | instid1(VALU_DEP_1)
	v_cndmask_b32_e32 v97, v97, v162, vcc_lo
	v_lshlrev_b32_e32 v97, 21, v97
	s_delay_alu instid0(VALU_DEP_1)
	v_or3_b32 v97, v83, v161, v97
.LBB2_223:                              ;   in Loop: Header=BB2_130 Depth=3
	s_or_b32 exec_lo, exec_lo, s21
	s_delay_alu instid0(VALU_DEP_1) | instskip(SKIP_1) | instid1(VALU_DEP_1)
	v_max_f32_e32 v83, v97, v97
	v_max_f32_e32 v97, v160, v160
	v_min_f32_e32 v160, v97, v83
.LBB2_224:                              ;   in Loop: Header=BB2_130 Depth=3
	s_or_b32 exec_lo, exec_lo, s9
	s_delay_alu instid0(VALU_DEP_1) | instskip(NEXT) | instid1(VALU_DEP_1)
	v_and_b32_e32 v83, 0x7f800000, v160
	v_cmp_ne_u32_e32 vcc_lo, 0x7f800000, v83
	v_mov_b32_e32 v83, 0x80
	s_and_saveexec_b32 s10, vcc_lo
	s_cbranch_execz .LBB2_232
; %bb.225:                              ;   in Loop: Header=BB2_130 Depth=3
	v_mov_b32_e32 v83, 0
	s_mov_b32 s21, exec_lo
	v_cmpx_ne_u32_e32 0, v160
	s_cbranch_execz .LBB2_231
; %bb.226:                              ;   in Loop: Header=BB2_130 Depth=3
	v_bfe_u32 v83, v160, 23, 8
	v_and_b32_e32 v97, 0x7fffff, v160
	s_delay_alu instid0(VALU_DEP_2) | instskip(SKIP_1) | instid1(VALU_DEP_3)
	v_sub_nc_u32_e32 v161, 0x70, v83
	v_cmp_gt_u32_e32 vcc_lo, 0x71, v83
	v_or_b32_e32 v162, 0x800000, v97
	s_delay_alu instid0(VALU_DEP_3) | instskip(SKIP_2) | instid1(VALU_DEP_3)
	v_cndmask_b32_e32 v161, 0, v161, vcc_lo
	v_cmp_eq_u32_e32 vcc_lo, 0, v83
	v_add_nc_u32_e32 v83, 0xffffff91, v83
	v_cndmask_b32_e64 v161, v161, 0x6f, vcc_lo
	v_cndmask_b32_e32 v97, v162, v97, vcc_lo
	s_delay_alu instid0(VALU_DEP_3) | instskip(NEXT) | instid1(VALU_DEP_3)
	v_cndmask_b32_e64 v83, v83, 0xffffff92, vcc_lo
	v_lshl_add_u32 v162, 0x200000, v161, -1
	s_delay_alu instid0(VALU_DEP_3) | instskip(SKIP_1) | instid1(VALU_DEP_4)
	v_lshrrev_b32_e32 v163, v161, v97
	v_lshlrev_b32_e64 v165, v161, 0x100000
	v_add_nc_u32_e32 v161, v161, v83
	s_delay_alu instid0(VALU_DEP_4) | instskip(NEXT) | instid1(VALU_DEP_4)
	v_and_b32_e32 v97, v162, v97
	v_bfe_u32 v164, v163, 21, 1
	s_delay_alu instid0(VALU_DEP_2) | instskip(NEXT) | instid1(VALU_DEP_2)
	v_cmp_eq_u32_e64 s9, v97, v165
	v_add_nc_u32_e32 v162, -1, v164
	s_delay_alu instid0(VALU_DEP_1) | instskip(SKIP_2) | instid1(VALU_DEP_2)
	v_cndmask_b32_e64 v97, 0, v162, s9
	v_lshrrev_b32_e32 v162, 23, v163
	s_mov_b32 s9, exec_lo
	v_add_nc_u32_e32 v97, v97, v163
	s_delay_alu instid0(VALU_DEP_2) | instskip(NEXT) | instid1(VALU_DEP_2)
	v_xor_b32_e32 v162, 1, v162
	v_and_b32_e32 v83, 0x1fffff, v97
	s_delay_alu instid0(VALU_DEP_1) | instskip(NEXT) | instid1(VALU_DEP_3)
	v_add_nc_u32_e32 v97, v83, v163
                                        ; implicit-def: $vgpr83
	v_cmpx_ne_u32_e64 v161, v162
	s_xor_b32 s9, exec_lo, s9
; %bb.227:                              ;   in Loop: Header=BB2_130 Depth=3
	s_delay_alu instid0(VALU_DEP_2) | instskip(SKIP_2) | instid1(VALU_DEP_2)
	v_cmp_lt_u32_e32 vcc_lo, 0xffffff, v97
	v_sub_nc_u32_e32 v83, v161, v162
	v_cndmask_b32_e64 v161, 0, 1, vcc_lo
	v_add_co_ci_u32_e32 v83, vcc_lo, 0, v83, vcc_lo
	s_delay_alu instid0(VALU_DEP_2)
	v_lshrrev_b32_e32 v97, v161, v97
; %bb.228:                              ;   in Loop: Header=BB2_130 Depth=3
	s_and_not1_saveexec_b32 s9, s9
; %bb.229:                              ;   in Loop: Header=BB2_130 Depth=3
	s_delay_alu instid0(VALU_DEP_1)
	v_bfe_u32 v83, v97, 23, 1
; %bb.230:                              ;   in Loop: Header=BB2_130 Depth=3
	s_or_b32 exec_lo, exec_lo, s9
	v_lshrrev_b32_e32 v97, 21, v97
	s_delay_alu instid0(VALU_DEP_2) | instskip(SKIP_2) | instid1(VALU_DEP_2)
	v_cmp_gt_i32_e32 vcc_lo, 32, v83
	v_lshrrev_b32_e32 v160, 24, v160
	v_min_i32_e32 v161, 31, v83
	v_dual_cndmask_b32 v97, 3, v97 :: v_dual_and_b32 v160, 0x80, v160
	s_delay_alu instid0(VALU_DEP_2) | instskip(NEXT) | instid1(VALU_DEP_2)
	v_lshlrev_b32_e32 v161, 2, v161
	v_and_b32_e32 v162, 3, v97
	v_or_b32_e32 v83, v83, v97
	s_delay_alu instid0(VALU_DEP_2) | instskip(NEXT) | instid1(VALU_DEP_2)
	v_or3_b32 v97, v161, v160, v162
	v_cmp_ne_u32_e32 vcc_lo, 0, v83
	s_delay_alu instid0(VALU_DEP_2)
	v_cndmask_b32_e32 v83, 0, v97, vcc_lo
.LBB2_231:                              ;   in Loop: Header=BB2_130 Depth=3
	s_or_b32 exec_lo, exec_lo, s21
.LBB2_232:                              ;   in Loop: Header=BB2_130 Depth=3
	s_delay_alu instid0(SALU_CYCLE_1) | instskip(SKIP_3) | instid1(SALU_CYCLE_1)
	s_or_b32 exec_lo, exec_lo, s10
	v_lshrrev_b32_e32 v160, 24, v19
	v_lshrrev_b32_e32 v97, 24, v96
                                        ; implicit-def: $vgpr161
	s_and_saveexec_b32 s9, s6
	s_xor_b32 s9, exec_lo, s9
	s_cbranch_execz .LBB2_242
; %bb.233:                              ;   in Loop: Header=BB2_130 Depth=3
	s_mov_b32 s10, 0
	s_mov_b32 s22, exec_lo
                                        ; implicit-def: $sgpr21
	v_cmpx_lt_i16_e64 0x7f, v160
	s_xor_b32 s22, exec_lo, s22
	s_cbranch_execnz .LBB2_418
; %bb.234:                              ;   in Loop: Header=BB2_130 Depth=3
	s_or_saveexec_b32 s22, s22
	v_mov_b32_e32 v161, s21
	s_xor_b32 exec_lo, exec_lo, s22
	s_cbranch_execnz .LBB2_421
.LBB2_235:                              ;   in Loop: Header=BB2_130 Depth=3
	s_or_b32 exec_lo, exec_lo, s22
	s_and_saveexec_b32 s21, s10
	s_cbranch_execz .LBB2_237
.LBB2_236:                              ;   in Loop: Header=BB2_130 Depth=3
	v_bfe_u32 v161, v19, 24, 2
	s_delay_alu instid0(VALU_DEP_1) | instskip(NEXT) | instid1(VALU_DEP_1)
	v_clz_i32_u32_e32 v162, v161
	v_min_u32_e32 v162, 32, v162
	s_delay_alu instid0(VALU_DEP_1) | instskip(SKIP_1) | instid1(VALU_DEP_2)
	v_subrev_nc_u32_e32 v163, 29, v162
	v_sub_nc_u32_e32 v162, 30, v162
	v_lshlrev_b32_e32 v160, v163, v160
	v_bfe_u32 v163, v19, 26, 5
	v_and_b32_e32 v19, 0x80000000, v19
	s_delay_alu instid0(VALU_DEP_3) | instskip(NEXT) | instid1(VALU_DEP_3)
	v_and_b32_e32 v160, 3, v160
	v_cmp_eq_u32_e32 vcc_lo, 0, v163
	v_cndmask_b32_e32 v162, v163, v162, vcc_lo
	s_delay_alu instid0(VALU_DEP_3) | instskip(NEXT) | instid1(VALU_DEP_2)
	v_cndmask_b32_e32 v160, v161, v160, vcc_lo
	v_lshl_add_u32 v161, v162, 23, 0x37800000
	s_delay_alu instid0(VALU_DEP_2) | instskip(NEXT) | instid1(VALU_DEP_1)
	v_lshlrev_b32_e32 v160, 21, v160
	v_or3_b32 v161, v19, v161, v160
.LBB2_237:                              ;   in Loop: Header=BB2_130 Depth=3
	s_or_b32 exec_lo, exec_lo, s21
	s_mov_b32 s10, 0
	s_mov_b32 s22, exec_lo
                                        ; implicit-def: $sgpr21
	v_cmpx_lt_i16_e32 0x7f, v97
	s_xor_b32 s22, exec_lo, s22
	s_cbranch_execnz .LBB2_422
; %bb.238:                              ;   in Loop: Header=BB2_130 Depth=3
	s_or_saveexec_b32 s22, s22
	v_mov_b32_e32 v19, s21
	s_xor_b32 exec_lo, exec_lo, s22
	s_cbranch_execnz .LBB2_425
.LBB2_239:                              ;   in Loop: Header=BB2_130 Depth=3
	s_or_b32 exec_lo, exec_lo, s22
	s_and_saveexec_b32 s21, s10
	s_cbranch_execz .LBB2_241
.LBB2_240:                              ;   in Loop: Header=BB2_130 Depth=3
	v_bfe_u32 v19, v96, 24, 2
	s_delay_alu instid0(VALU_DEP_1) | instskip(NEXT) | instid1(VALU_DEP_1)
	v_clz_i32_u32_e32 v160, v19
	v_min_u32_e32 v160, 32, v160
	s_delay_alu instid0(VALU_DEP_1) | instskip(SKIP_1) | instid1(VALU_DEP_2)
	v_subrev_nc_u32_e32 v162, 29, v160
	v_sub_nc_u32_e32 v160, 30, v160
	v_lshlrev_b32_e32 v97, v162, v97
	v_bfe_u32 v162, v96, 26, 5
	v_and_b32_e32 v96, 0x80000000, v96
	s_delay_alu instid0(VALU_DEP_2) | instskip(NEXT) | instid1(VALU_DEP_4)
	v_cmp_eq_u32_e32 vcc_lo, 0, v162
	v_dual_cndmask_b32 v160, v162, v160 :: v_dual_and_b32 v97, 3, v97
	s_delay_alu instid0(VALU_DEP_1) | instskip(NEXT) | instid1(VALU_DEP_2)
	v_cndmask_b32_e32 v19, v19, v97, vcc_lo
	v_lshl_add_u32 v97, v160, 23, 0x37800000
	s_delay_alu instid0(VALU_DEP_2) | instskip(NEXT) | instid1(VALU_DEP_1)
	v_lshlrev_b32_e32 v19, 21, v19
	v_or3_b32 v19, v96, v97, v19
.LBB2_241:                              ;   in Loop: Header=BB2_130 Depth=3
	s_or_b32 exec_lo, exec_lo, s21
	s_delay_alu instid0(VALU_DEP_1) | instskip(NEXT) | instid1(VALU_DEP_1)
	v_dual_max_f32 v19, v19, v19 :: v_dual_max_f32 v96, v161, v161
                                        ; implicit-def: $vgpr97
                                        ; implicit-def: $vgpr160
	v_max_f32_e32 v161, v96, v19
                                        ; implicit-def: $vgpr96
.LBB2_242:                              ;   in Loop: Header=BB2_130 Depth=3
	s_and_not1_saveexec_b32 s9, s9
	s_cbranch_execz .LBB2_252
; %bb.243:                              ;   in Loop: Header=BB2_130 Depth=3
	s_mov_b32 s10, 0
	s_mov_b32 s22, exec_lo
                                        ; implicit-def: $sgpr21
	v_cmpx_lt_i16_e64 0x7f, v160
	s_xor_b32 s22, exec_lo, s22
	s_cbranch_execnz .LBB2_426
; %bb.244:                              ;   in Loop: Header=BB2_130 Depth=3
	s_or_saveexec_b32 s22, s22
	v_mov_b32_e32 v161, s21
	s_xor_b32 exec_lo, exec_lo, s22
	s_cbranch_execnz .LBB2_429
.LBB2_245:                              ;   in Loop: Header=BB2_130 Depth=3
	s_or_b32 exec_lo, exec_lo, s22
	s_and_saveexec_b32 s21, s10
	s_cbranch_execz .LBB2_247
.LBB2_246:                              ;   in Loop: Header=BB2_130 Depth=3
	v_bfe_u32 v161, v19, 24, 2
	s_delay_alu instid0(VALU_DEP_1) | instskip(NEXT) | instid1(VALU_DEP_1)
	v_clz_i32_u32_e32 v162, v161
	v_min_u32_e32 v162, 32, v162
	s_delay_alu instid0(VALU_DEP_1) | instskip(SKIP_1) | instid1(VALU_DEP_2)
	v_subrev_nc_u32_e32 v163, 29, v162
	v_sub_nc_u32_e32 v162, 30, v162
	v_lshlrev_b32_e32 v160, v163, v160
	v_bfe_u32 v163, v19, 26, 5
	v_and_b32_e32 v19, 0x80000000, v19
	s_delay_alu instid0(VALU_DEP_3) | instskip(NEXT) | instid1(VALU_DEP_3)
	v_and_b32_e32 v160, 3, v160
	v_cmp_eq_u32_e32 vcc_lo, 0, v163
	v_cndmask_b32_e32 v162, v163, v162, vcc_lo
	s_delay_alu instid0(VALU_DEP_3) | instskip(NEXT) | instid1(VALU_DEP_2)
	v_cndmask_b32_e32 v160, v161, v160, vcc_lo
	v_lshl_add_u32 v161, v162, 23, 0x37800000
	s_delay_alu instid0(VALU_DEP_2) | instskip(NEXT) | instid1(VALU_DEP_1)
	v_lshlrev_b32_e32 v160, 21, v160
	v_or3_b32 v161, v19, v161, v160
.LBB2_247:                              ;   in Loop: Header=BB2_130 Depth=3
	s_or_b32 exec_lo, exec_lo, s21
	s_mov_b32 s10, 0
	s_mov_b32 s22, exec_lo
                                        ; implicit-def: $sgpr21
	v_cmpx_lt_i16_e32 0x7f, v97
	s_xor_b32 s22, exec_lo, s22
	s_cbranch_execnz .LBB2_430
; %bb.248:                              ;   in Loop: Header=BB2_130 Depth=3
	s_or_saveexec_b32 s22, s22
	v_mov_b32_e32 v19, s21
	s_xor_b32 exec_lo, exec_lo, s22
	s_cbranch_execnz .LBB2_433
.LBB2_249:                              ;   in Loop: Header=BB2_130 Depth=3
	s_or_b32 exec_lo, exec_lo, s22
	s_and_saveexec_b32 s21, s10
	s_cbranch_execz .LBB2_251
.LBB2_250:                              ;   in Loop: Header=BB2_130 Depth=3
	v_bfe_u32 v19, v96, 24, 2
	s_delay_alu instid0(VALU_DEP_1) | instskip(NEXT) | instid1(VALU_DEP_1)
	v_clz_i32_u32_e32 v160, v19
	v_min_u32_e32 v160, 32, v160
	s_delay_alu instid0(VALU_DEP_1) | instskip(SKIP_1) | instid1(VALU_DEP_2)
	v_subrev_nc_u32_e32 v162, 29, v160
	v_sub_nc_u32_e32 v160, 30, v160
	v_lshlrev_b32_e32 v97, v162, v97
	v_bfe_u32 v162, v96, 26, 5
	v_and_b32_e32 v96, 0x80000000, v96
	s_delay_alu instid0(VALU_DEP_2) | instskip(NEXT) | instid1(VALU_DEP_4)
	v_cmp_eq_u32_e32 vcc_lo, 0, v162
	v_dual_cndmask_b32 v160, v162, v160 :: v_dual_and_b32 v97, 3, v97
	s_delay_alu instid0(VALU_DEP_1) | instskip(NEXT) | instid1(VALU_DEP_2)
	v_cndmask_b32_e32 v19, v19, v97, vcc_lo
	v_lshl_add_u32 v97, v160, 23, 0x37800000
	s_delay_alu instid0(VALU_DEP_2) | instskip(NEXT) | instid1(VALU_DEP_1)
	v_lshlrev_b32_e32 v19, 21, v19
	v_or3_b32 v19, v96, v97, v19
.LBB2_251:                              ;   in Loop: Header=BB2_130 Depth=3
	s_or_b32 exec_lo, exec_lo, s21
	s_delay_alu instid0(VALU_DEP_1) | instskip(NEXT) | instid1(VALU_DEP_1)
	v_dual_max_f32 v19, v19, v19 :: v_dual_max_f32 v96, v161, v161
	v_min_f32_e32 v161, v96, v19
.LBB2_252:                              ;   in Loop: Header=BB2_130 Depth=3
	s_or_b32 exec_lo, exec_lo, s9
	s_delay_alu instid0(VALU_DEP_1) | instskip(SKIP_2) | instid1(VALU_DEP_2)
	v_and_b32_e32 v19, 0x7f800000, v161
	v_mov_b32_e32 v96, 0x80
	s_mov_b32 s10, exec_lo
	v_cmpx_ne_u32_e32 0x7f800000, v19
	s_cbranch_execz .LBB2_260
; %bb.253:                              ;   in Loop: Header=BB2_130 Depth=3
	v_mov_b32_e32 v96, 0
	s_mov_b32 s21, exec_lo
	v_cmpx_ne_u32_e32 0, v161
	s_cbranch_execz .LBB2_259
; %bb.254:                              ;   in Loop: Header=BB2_130 Depth=3
	v_bfe_u32 v19, v161, 23, 8
	v_and_b32_e32 v96, 0x7fffff, v161
	s_delay_alu instid0(VALU_DEP_2) | instskip(SKIP_1) | instid1(VALU_DEP_3)
	v_sub_nc_u32_e32 v97, 0x70, v19
	v_cmp_gt_u32_e32 vcc_lo, 0x71, v19
	v_or_b32_e32 v160, 0x800000, v96
	s_delay_alu instid0(VALU_DEP_3) | instskip(SKIP_1) | instid1(VALU_DEP_3)
	v_cndmask_b32_e32 v97, 0, v97, vcc_lo
	v_cmp_eq_u32_e32 vcc_lo, 0, v19
	v_dual_cndmask_b32 v96, v160, v96 :: v_dual_add_nc_u32 v19, 0xffffff91, v19
	s_delay_alu instid0(VALU_DEP_3) | instskip(NEXT) | instid1(VALU_DEP_2)
	v_cndmask_b32_e64 v97, v97, 0x6f, vcc_lo
	v_cndmask_b32_e64 v19, v19, 0xffffff92, vcc_lo
	s_delay_alu instid0(VALU_DEP_2) | instskip(SKIP_2) | instid1(VALU_DEP_4)
	v_lshrrev_b32_e32 v162, v97, v96
	v_lshl_add_u32 v160, 0x200000, v97, -1
	v_lshlrev_b32_e64 v164, v97, 0x100000
	v_add_nc_u32_e32 v97, v97, v19
	s_delay_alu instid0(VALU_DEP_4) | instskip(NEXT) | instid1(VALU_DEP_4)
	v_bfe_u32 v163, v162, 21, 1
	v_and_b32_e32 v96, v160, v96
	s_delay_alu instid0(VALU_DEP_2) | instskip(NEXT) | instid1(VALU_DEP_2)
	v_add_nc_u32_e32 v160, -1, v163
	v_cmp_eq_u32_e64 s9, v96, v164
	s_delay_alu instid0(VALU_DEP_1) | instskip(SKIP_2) | instid1(VALU_DEP_2)
	v_cndmask_b32_e64 v96, 0, v160, s9
	v_lshrrev_b32_e32 v160, 23, v162
	s_mov_b32 s9, exec_lo
	v_add_nc_u32_e32 v96, v96, v162
	s_delay_alu instid0(VALU_DEP_2) | instskip(NEXT) | instid1(VALU_DEP_2)
	v_xor_b32_e32 v160, 1, v160
	v_and_b32_e32 v19, 0x1fffff, v96
	s_delay_alu instid0(VALU_DEP_1) | instskip(NEXT) | instid1(VALU_DEP_3)
	v_add_nc_u32_e32 v96, v19, v162
                                        ; implicit-def: $vgpr19
	v_cmpx_ne_u32_e64 v97, v160
	s_xor_b32 s9, exec_lo, s9
; %bb.255:                              ;   in Loop: Header=BB2_130 Depth=3
	s_delay_alu instid0(VALU_DEP_2) | instskip(SKIP_2) | instid1(VALU_DEP_2)
	v_cmp_lt_u32_e32 vcc_lo, 0xffffff, v96
	v_sub_nc_u32_e32 v19, v97, v160
	v_cndmask_b32_e64 v97, 0, 1, vcc_lo
	v_add_co_ci_u32_e32 v19, vcc_lo, 0, v19, vcc_lo
	s_delay_alu instid0(VALU_DEP_2)
	v_lshrrev_b32_e32 v96, v97, v96
; %bb.256:                              ;   in Loop: Header=BB2_130 Depth=3
	s_and_not1_saveexec_b32 s9, s9
; %bb.257:                              ;   in Loop: Header=BB2_130 Depth=3
	s_delay_alu instid0(VALU_DEP_1)
	v_bfe_u32 v19, v96, 23, 1
; %bb.258:                              ;   in Loop: Header=BB2_130 Depth=3
	s_or_b32 exec_lo, exec_lo, s9
	v_lshrrev_b32_e32 v96, 21, v96
	s_delay_alu instid0(VALU_DEP_2) | instskip(SKIP_2) | instid1(VALU_DEP_2)
	v_cmp_gt_i32_e32 vcc_lo, 32, v19
	v_lshrrev_b32_e32 v97, 24, v161
	v_min_i32_e32 v160, 31, v19
	v_dual_cndmask_b32 v96, 3, v96 :: v_dual_and_b32 v97, 0x80, v97
	s_delay_alu instid0(VALU_DEP_2) | instskip(NEXT) | instid1(VALU_DEP_2)
	v_lshlrev_b32_e32 v160, 2, v160
	v_and_b32_e32 v161, 3, v96
	v_or_b32_e32 v19, v19, v96
	s_delay_alu instid0(VALU_DEP_2) | instskip(NEXT) | instid1(VALU_DEP_2)
	v_or3_b32 v96, v160, v97, v161
	v_cmp_ne_u32_e32 vcc_lo, 0, v19
	s_delay_alu instid0(VALU_DEP_2)
	v_cndmask_b32_e32 v96, 0, v96, vcc_lo
.LBB2_259:                              ;   in Loop: Header=BB2_130 Depth=3
	s_or_b32 exec_lo, exec_lo, s21
.LBB2_260:                              ;   in Loop: Header=BB2_130 Depth=3
	s_delay_alu instid0(SALU_CYCLE_1) | instskip(SKIP_2) | instid1(SALU_CYCLE_1)
	s_or_b32 exec_lo, exec_lo, s10
	v_alignbit_b32 v97, v150, v151, v20
                                        ; implicit-def: $vgpr20
	s_and_saveexec_b32 s9, s6
	s_xor_b32 s9, exec_lo, s9
	s_cbranch_execz .LBB2_270
; %bb.261:                              ;   in Loop: Header=BB2_130 Depth=3
	v_and_b32_e32 v20, 0xff, v21
	s_mov_b32 s10, 0
	s_mov_b32 s22, exec_lo
                                        ; implicit-def: $sgpr21
	s_delay_alu instid0(VALU_DEP_1)
	v_cmpx_lt_i16_e32 0x7f, v20
	s_xor_b32 s22, exec_lo, s22
	s_cbranch_execnz .LBB2_434
; %bb.262:                              ;   in Loop: Header=BB2_130 Depth=3
	s_or_saveexec_b32 s22, s22
	v_mov_b32_e32 v19, s21
	s_xor_b32 exec_lo, exec_lo, s22
	s_cbranch_execnz .LBB2_437
.LBB2_263:                              ;   in Loop: Header=BB2_130 Depth=3
	s_or_b32 exec_lo, exec_lo, s22
	s_and_saveexec_b32 s21, s10
	s_cbranch_execz .LBB2_265
.LBB2_264:                              ;   in Loop: Header=BB2_130 Depth=3
	v_bfe_u32 v151, v21, 2, 5
	s_delay_alu instid0(VALU_DEP_1) | instskip(SKIP_1) | instid1(VALU_DEP_1)
	v_cmp_eq_u32_e32 vcc_lo, 0, v151
	v_and_b32_e32 v19, 3, v21
	v_clz_i32_u32_e32 v20, v19
	s_delay_alu instid0(VALU_DEP_1) | instskip(NEXT) | instid1(VALU_DEP_1)
	v_min_u32_e32 v20, 32, v20
	v_subrev_nc_u32_e32 v150, 29, v20
	v_sub_nc_u32_e32 v20, 30, v20
	s_delay_alu instid0(VALU_DEP_2) | instskip(NEXT) | instid1(VALU_DEP_2)
	v_lshlrev_b32_e32 v150, v150, v21
	v_cndmask_b32_e32 v20, v151, v20, vcc_lo
	s_delay_alu instid0(VALU_DEP_2) | instskip(SKIP_1) | instid1(VALU_DEP_3)
	v_and_b32_e32 v150, 3, v150
	v_lshlrev_b32_e32 v160, 24, v21
	v_lshl_add_u32 v20, v20, 23, 0x37800000
	s_delay_alu instid0(VALU_DEP_2) | instskip(NEXT) | instid1(VALU_DEP_1)
	v_dual_cndmask_b32 v19, v19, v150 :: v_dual_and_b32 v150, 0x80000000, v160
	v_lshlrev_b32_e32 v19, 21, v19
	s_delay_alu instid0(VALU_DEP_1)
	v_or3_b32 v19, v150, v20, v19
.LBB2_265:                              ;   in Loop: Header=BB2_130 Depth=3
	s_or_b32 exec_lo, exec_lo, s21
	v_and_b32_e32 v150, 0xff, v97
	s_mov_b32 s10, 0
	s_mov_b32 s22, exec_lo
                                        ; implicit-def: $sgpr21
	s_delay_alu instid0(VALU_DEP_1)
	v_cmpx_lt_i16_e64 0x7f, v150
	s_xor_b32 s22, exec_lo, s22
	s_cbranch_execnz .LBB2_438
; %bb.266:                              ;   in Loop: Header=BB2_130 Depth=3
	s_or_saveexec_b32 s22, s22
	v_mov_b32_e32 v20, s21
	s_xor_b32 exec_lo, exec_lo, s22
	s_cbranch_execnz .LBB2_441
.LBB2_267:                              ;   in Loop: Header=BB2_130 Depth=3
	s_or_b32 exec_lo, exec_lo, s22
	s_and_saveexec_b32 s21, s10
	s_cbranch_execz .LBB2_269
.LBB2_268:                              ;   in Loop: Header=BB2_130 Depth=3
	v_and_b32_e32 v20, 3, v97
	v_bfe_u32 v160, v97, 2, 5
	s_delay_alu instid0(VALU_DEP_2) | instskip(NEXT) | instid1(VALU_DEP_2)
	v_clz_i32_u32_e32 v150, v20
	v_cmp_eq_u32_e32 vcc_lo, 0, v160
	s_delay_alu instid0(VALU_DEP_2) | instskip(NEXT) | instid1(VALU_DEP_1)
	v_min_u32_e32 v150, 32, v150
	v_subrev_nc_u32_e32 v151, 29, v150
	v_sub_nc_u32_e32 v150, 30, v150
	s_delay_alu instid0(VALU_DEP_1) | instskip(NEXT) | instid1(VALU_DEP_1)
	v_dual_cndmask_b32 v150, v160, v150 :: v_dual_lshlrev_b32 v151, v151, v97
	v_and_b32_e32 v151, 3, v151
	v_lshlrev_b32_e32 v161, 24, v97
	s_delay_alu instid0(VALU_DEP_3) | instskip(NEXT) | instid1(VALU_DEP_2)
	v_lshl_add_u32 v150, v150, 23, 0x37800000
	v_dual_cndmask_b32 v20, v20, v151 :: v_dual_and_b32 v151, 0x80000000, v161
	s_delay_alu instid0(VALU_DEP_1) | instskip(NEXT) | instid1(VALU_DEP_1)
	v_lshlrev_b32_e32 v20, 21, v20
	v_or3_b32 v20, v151, v150, v20
.LBB2_269:                              ;   in Loop: Header=BB2_130 Depth=3
	s_or_b32 exec_lo, exec_lo, s21
	s_delay_alu instid0(VALU_DEP_1) | instskip(NEXT) | instid1(VALU_DEP_1)
	v_dual_max_f32 v20, v20, v20 :: v_dual_max_f32 v19, v19, v19
	v_max_f32_e32 v20, v19, v20
.LBB2_270:                              ;   in Loop: Header=BB2_130 Depth=3
	s_and_not1_saveexec_b32 s9, s9
	s_cbranch_execz .LBB2_280
; %bb.271:                              ;   in Loop: Header=BB2_130 Depth=3
	v_and_b32_e32 v20, 0xff, v21
	s_mov_b32 s10, 0
	s_mov_b32 s22, exec_lo
                                        ; implicit-def: $sgpr21
	s_delay_alu instid0(VALU_DEP_1)
	v_cmpx_lt_i16_e32 0x7f, v20
	s_xor_b32 s22, exec_lo, s22
	s_cbranch_execnz .LBB2_442
; %bb.272:                              ;   in Loop: Header=BB2_130 Depth=3
	s_or_saveexec_b32 s22, s22
	v_mov_b32_e32 v19, s21
	s_xor_b32 exec_lo, exec_lo, s22
	s_cbranch_execnz .LBB2_445
.LBB2_273:                              ;   in Loop: Header=BB2_130 Depth=3
	s_or_b32 exec_lo, exec_lo, s22
	s_and_saveexec_b32 s21, s10
	s_cbranch_execz .LBB2_275
.LBB2_274:                              ;   in Loop: Header=BB2_130 Depth=3
	v_bfe_u32 v151, v21, 2, 5
	s_delay_alu instid0(VALU_DEP_1) | instskip(SKIP_1) | instid1(VALU_DEP_1)
	v_cmp_eq_u32_e32 vcc_lo, 0, v151
	v_and_b32_e32 v19, 3, v21
	v_clz_i32_u32_e32 v20, v19
	s_delay_alu instid0(VALU_DEP_1) | instskip(NEXT) | instid1(VALU_DEP_1)
	v_min_u32_e32 v20, 32, v20
	v_subrev_nc_u32_e32 v150, 29, v20
	v_sub_nc_u32_e32 v20, 30, v20
	s_delay_alu instid0(VALU_DEP_2) | instskip(NEXT) | instid1(VALU_DEP_2)
	v_lshlrev_b32_e32 v150, v150, v21
	v_cndmask_b32_e32 v20, v151, v20, vcc_lo
	s_delay_alu instid0(VALU_DEP_2) | instskip(SKIP_1) | instid1(VALU_DEP_3)
	v_and_b32_e32 v150, 3, v150
	v_lshlrev_b32_e32 v160, 24, v21
	v_lshl_add_u32 v20, v20, 23, 0x37800000
	s_delay_alu instid0(VALU_DEP_2) | instskip(NEXT) | instid1(VALU_DEP_1)
	v_dual_cndmask_b32 v19, v19, v150 :: v_dual_and_b32 v150, 0x80000000, v160
	v_lshlrev_b32_e32 v19, 21, v19
	s_delay_alu instid0(VALU_DEP_1)
	v_or3_b32 v19, v150, v20, v19
.LBB2_275:                              ;   in Loop: Header=BB2_130 Depth=3
	s_or_b32 exec_lo, exec_lo, s21
	v_and_b32_e32 v150, 0xff, v97
	s_mov_b32 s10, 0
	s_mov_b32 s22, exec_lo
                                        ; implicit-def: $sgpr21
	s_delay_alu instid0(VALU_DEP_1)
	v_cmpx_lt_i16_e64 0x7f, v150
	s_xor_b32 s22, exec_lo, s22
	s_cbranch_execnz .LBB2_446
; %bb.276:                              ;   in Loop: Header=BB2_130 Depth=3
	s_or_saveexec_b32 s22, s22
	v_mov_b32_e32 v20, s21
	s_xor_b32 exec_lo, exec_lo, s22
	s_cbranch_execnz .LBB2_449
.LBB2_277:                              ;   in Loop: Header=BB2_130 Depth=3
	s_or_b32 exec_lo, exec_lo, s22
	s_and_saveexec_b32 s21, s10
	s_cbranch_execz .LBB2_279
.LBB2_278:                              ;   in Loop: Header=BB2_130 Depth=3
	v_and_b32_e32 v20, 3, v97
	v_bfe_u32 v160, v97, 2, 5
	s_delay_alu instid0(VALU_DEP_2) | instskip(NEXT) | instid1(VALU_DEP_2)
	v_clz_i32_u32_e32 v150, v20
	v_cmp_eq_u32_e32 vcc_lo, 0, v160
	s_delay_alu instid0(VALU_DEP_2) | instskip(NEXT) | instid1(VALU_DEP_1)
	v_min_u32_e32 v150, 32, v150
	v_subrev_nc_u32_e32 v151, 29, v150
	v_sub_nc_u32_e32 v150, 30, v150
	s_delay_alu instid0(VALU_DEP_1) | instskip(NEXT) | instid1(VALU_DEP_1)
	v_dual_cndmask_b32 v150, v160, v150 :: v_dual_lshlrev_b32 v151, v151, v97
	v_and_b32_e32 v151, 3, v151
	v_lshlrev_b32_e32 v161, 24, v97
	s_delay_alu instid0(VALU_DEP_3) | instskip(NEXT) | instid1(VALU_DEP_2)
	v_lshl_add_u32 v150, v150, 23, 0x37800000
	v_dual_cndmask_b32 v20, v20, v151 :: v_dual_and_b32 v151, 0x80000000, v161
	s_delay_alu instid0(VALU_DEP_1) | instskip(NEXT) | instid1(VALU_DEP_1)
	v_lshlrev_b32_e32 v20, 21, v20
	v_or3_b32 v20, v151, v150, v20
.LBB2_279:                              ;   in Loop: Header=BB2_130 Depth=3
	s_or_b32 exec_lo, exec_lo, s21
	s_delay_alu instid0(VALU_DEP_1) | instskip(NEXT) | instid1(VALU_DEP_1)
	v_dual_max_f32 v20, v20, v20 :: v_dual_max_f32 v19, v19, v19
	v_min_f32_e32 v20, v19, v20
.LBB2_280:                              ;   in Loop: Header=BB2_130 Depth=3
	s_or_b32 exec_lo, exec_lo, s9
	s_delay_alu instid0(VALU_DEP_1) | instskip(NEXT) | instid1(VALU_DEP_1)
	v_dual_mov_b32 v19, v21 :: v_dual_and_b32 v150, 0x7f800000, v20
	v_cmp_ne_u32_e32 vcc_lo, 0x7f800000, v150
	v_mov_b32_e32 v150, 0x80
	s_and_saveexec_b32 s10, vcc_lo
	s_cbranch_execz .LBB2_288
; %bb.281:                              ;   in Loop: Header=BB2_130 Depth=3
	v_mov_b32_e32 v150, 0
	s_mov_b32 s21, exec_lo
	v_cmpx_ne_u32_e32 0, v20
	s_cbranch_execz .LBB2_287
; %bb.282:                              ;   in Loop: Header=BB2_130 Depth=3
	v_bfe_u32 v150, v20, 23, 8
	v_and_b32_e32 v151, 0x7fffff, v20
	s_delay_alu instid0(VALU_DEP_2) | instskip(SKIP_1) | instid1(VALU_DEP_3)
	v_sub_nc_u32_e32 v160, 0x70, v150
	v_cmp_gt_u32_e32 vcc_lo, 0x71, v150
	v_or_b32_e32 v161, 0x800000, v151
	s_delay_alu instid0(VALU_DEP_3) | instskip(SKIP_1) | instid1(VALU_DEP_3)
	v_cndmask_b32_e32 v160, 0, v160, vcc_lo
	v_cmp_eq_u32_e32 vcc_lo, 0, v150
	v_dual_cndmask_b32 v151, v161, v151 :: v_dual_add_nc_u32 v150, 0xffffff91, v150
	s_delay_alu instid0(VALU_DEP_3) | instskip(NEXT) | instid1(VALU_DEP_2)
	v_cndmask_b32_e64 v160, v160, 0x6f, vcc_lo
	v_cndmask_b32_e64 v150, v150, 0xffffff92, vcc_lo
	s_delay_alu instid0(VALU_DEP_2) | instskip(SKIP_2) | instid1(VALU_DEP_4)
	v_lshrrev_b32_e32 v162, v160, v151
	v_lshl_add_u32 v161, 0x200000, v160, -1
	v_lshlrev_b32_e64 v164, v160, 0x100000
	v_add_nc_u32_e32 v160, v160, v150
	s_delay_alu instid0(VALU_DEP_4) | instskip(NEXT) | instid1(VALU_DEP_4)
	v_bfe_u32 v163, v162, 21, 1
	v_and_b32_e32 v151, v161, v151
	s_delay_alu instid0(VALU_DEP_2) | instskip(NEXT) | instid1(VALU_DEP_2)
	v_add_nc_u32_e32 v161, -1, v163
	v_cmp_eq_u32_e64 s9, v151, v164
	s_delay_alu instid0(VALU_DEP_1) | instskip(SKIP_2) | instid1(VALU_DEP_2)
	v_cndmask_b32_e64 v151, 0, v161, s9
	v_lshrrev_b32_e32 v161, 23, v162
	s_mov_b32 s9, exec_lo
	v_add_nc_u32_e32 v151, v151, v162
	s_delay_alu instid0(VALU_DEP_2) | instskip(NEXT) | instid1(VALU_DEP_2)
	v_xor_b32_e32 v161, 1, v161
	v_and_b32_e32 v150, 0x1fffff, v151
	s_delay_alu instid0(VALU_DEP_1) | instskip(NEXT) | instid1(VALU_DEP_3)
	v_add_nc_u32_e32 v151, v150, v162
                                        ; implicit-def: $vgpr150
	v_cmpx_ne_u32_e64 v160, v161
	s_xor_b32 s9, exec_lo, s9
; %bb.283:                              ;   in Loop: Header=BB2_130 Depth=3
	s_delay_alu instid0(VALU_DEP_2) | instskip(SKIP_2) | instid1(VALU_DEP_2)
	v_cmp_lt_u32_e32 vcc_lo, 0xffffff, v151
	v_sub_nc_u32_e32 v150, v160, v161
	v_cndmask_b32_e64 v160, 0, 1, vcc_lo
	v_add_co_ci_u32_e32 v150, vcc_lo, 0, v150, vcc_lo
	s_delay_alu instid0(VALU_DEP_2)
	v_lshrrev_b32_e32 v151, v160, v151
; %bb.284:                              ;   in Loop: Header=BB2_130 Depth=3
	s_and_not1_saveexec_b32 s9, s9
; %bb.285:                              ;   in Loop: Header=BB2_130 Depth=3
	s_delay_alu instid0(VALU_DEP_1)
	v_bfe_u32 v150, v151, 23, 1
; %bb.286:                              ;   in Loop: Header=BB2_130 Depth=3
	s_or_b32 exec_lo, exec_lo, s9
	v_lshrrev_b32_e32 v151, 21, v151
	s_delay_alu instid0(VALU_DEP_2) | instskip(SKIP_2) | instid1(VALU_DEP_2)
	v_cmp_gt_i32_e32 vcc_lo, 32, v150
	v_lshrrev_b32_e32 v20, 24, v20
	v_min_i32_e32 v160, 31, v150
	v_dual_cndmask_b32 v151, 3, v151 :: v_dual_and_b32 v20, 0x80, v20
	s_delay_alu instid0(VALU_DEP_2) | instskip(NEXT) | instid1(VALU_DEP_2)
	v_lshlrev_b32_e32 v160, 2, v160
	v_or_b32_e32 v150, v150, v151
	s_delay_alu instid0(VALU_DEP_1) | instskip(SKIP_1) | instid1(VALU_DEP_1)
	v_cmp_ne_u32_e32 vcc_lo, 0, v150
	v_and_b32_e32 v161, 3, v151
	v_or3_b32 v20, v160, v20, v161
	s_delay_alu instid0(VALU_DEP_1)
	v_cndmask_b32_e32 v150, 0, v20, vcc_lo
.LBB2_287:                              ;   in Loop: Header=BB2_130 Depth=3
	s_or_b32 exec_lo, exec_lo, s21
.LBB2_288:                              ;   in Loop: Header=BB2_130 Depth=3
	s_delay_alu instid0(SALU_CYCLE_1) | instskip(SKIP_3) | instid1(SALU_CYCLE_1)
	s_or_b32 exec_lo, exec_lo, s10
	v_lshrrev_b16 v160, 8, v19
	v_lshrrev_b16 v151, 8, v97
                                        ; implicit-def: $vgpr161
	s_and_saveexec_b32 s9, s6
	s_xor_b32 s9, exec_lo, s9
	s_cbranch_execz .LBB2_298
; %bb.289:                              ;   in Loop: Header=BB2_130 Depth=3
	s_mov_b32 s10, 0
	s_mov_b32 s22, exec_lo
                                        ; implicit-def: $sgpr21
	v_cmpx_lt_i16_e64 0x7f, v160
	s_xor_b32 s22, exec_lo, s22
	s_cbranch_execnz .LBB2_450
; %bb.290:                              ;   in Loop: Header=BB2_130 Depth=3
	s_or_saveexec_b32 s22, s22
	v_mov_b32_e32 v20, s21
	s_xor_b32 exec_lo, exec_lo, s22
	s_cbranch_execnz .LBB2_453
.LBB2_291:                              ;   in Loop: Header=BB2_130 Depth=3
	s_or_b32 exec_lo, exec_lo, s22
	s_and_saveexec_b32 s21, s10
	s_cbranch_execz .LBB2_293
.LBB2_292:                              ;   in Loop: Header=BB2_130 Depth=3
	v_and_b32_e32 v20, 0xffff, v160
	s_delay_alu instid0(VALU_DEP_1) | instskip(NEXT) | instid1(VALU_DEP_1)
	v_and_b32_e32 v160, 3, v20
	v_clz_i32_u32_e32 v161, v160
	s_delay_alu instid0(VALU_DEP_1) | instskip(NEXT) | instid1(VALU_DEP_1)
	v_min_u32_e32 v161, 32, v161
	v_subrev_nc_u32_e32 v162, 29, v161
	v_sub_nc_u32_e32 v161, 30, v161
	s_delay_alu instid0(VALU_DEP_2) | instskip(SKIP_1) | instid1(VALU_DEP_2)
	v_lshlrev_b32_e32 v162, v162, v20
	v_bfe_u32 v20, v20, 2, 5
	v_and_b32_e32 v162, 3, v162
	s_delay_alu instid0(VALU_DEP_2) | instskip(SKIP_1) | instid1(VALU_DEP_1)
	v_cmp_eq_u32_e32 vcc_lo, 0, v20
	v_dual_cndmask_b32 v20, v20, v161 :: v_dual_lshlrev_b32 v19, 16, v19
	v_dual_cndmask_b32 v160, v160, v162 :: v_dual_and_b32 v19, 0x80000000, v19
	s_delay_alu instid0(VALU_DEP_2) | instskip(NEXT) | instid1(VALU_DEP_2)
	v_lshl_add_u32 v20, v20, 23, 0x37800000
	v_lshlrev_b32_e32 v160, 21, v160
	s_delay_alu instid0(VALU_DEP_1)
	v_or3_b32 v20, v19, v20, v160
.LBB2_293:                              ;   in Loop: Header=BB2_130 Depth=3
	s_or_b32 exec_lo, exec_lo, s21
	s_mov_b32 s10, 0
	s_mov_b32 s22, exec_lo
                                        ; implicit-def: $sgpr21
	v_cmpx_lt_i16_e64 0x7f, v151
	s_xor_b32 s22, exec_lo, s22
	s_cbranch_execnz .LBB2_454
; %bb.294:                              ;   in Loop: Header=BB2_130 Depth=3
	s_or_saveexec_b32 s22, s22
	v_mov_b32_e32 v19, s21
	s_xor_b32 exec_lo, exec_lo, s22
	s_cbranch_execnz .LBB2_457
.LBB2_295:                              ;   in Loop: Header=BB2_130 Depth=3
	s_or_b32 exec_lo, exec_lo, s22
	s_and_saveexec_b32 s21, s10
	s_cbranch_execz .LBB2_297
.LBB2_296:                              ;   in Loop: Header=BB2_130 Depth=3
	v_and_b32_e32 v19, 0xffff, v151
	s_delay_alu instid0(VALU_DEP_1) | instskip(NEXT) | instid1(VALU_DEP_1)
	v_and_b32_e32 v151, 3, v19
	v_clz_i32_u32_e32 v160, v151
	s_delay_alu instid0(VALU_DEP_1) | instskip(NEXT) | instid1(VALU_DEP_1)
	v_min_u32_e32 v160, 32, v160
	v_subrev_nc_u32_e32 v161, 29, v160
	v_sub_nc_u32_e32 v160, 30, v160
	s_delay_alu instid0(VALU_DEP_2) | instskip(SKIP_1) | instid1(VALU_DEP_2)
	v_lshlrev_b32_e32 v161, v161, v19
	v_bfe_u32 v19, v19, 2, 5
	v_and_b32_e32 v161, 3, v161
	s_delay_alu instid0(VALU_DEP_2) | instskip(SKIP_1) | instid1(VALU_DEP_1)
	v_cmp_eq_u32_e32 vcc_lo, 0, v19
	v_dual_cndmask_b32 v19, v19, v160 :: v_dual_lshlrev_b32 v162, 16, v97
	v_dual_cndmask_b32 v151, v151, v161 :: v_dual_and_b32 v160, 0x80000000, v162
	s_delay_alu instid0(VALU_DEP_2) | instskip(NEXT) | instid1(VALU_DEP_2)
	v_lshl_add_u32 v19, v19, 23, 0x37800000
	v_lshlrev_b32_e32 v151, 21, v151
	s_delay_alu instid0(VALU_DEP_1)
	v_or3_b32 v19, v160, v19, v151
.LBB2_297:                              ;   in Loop: Header=BB2_130 Depth=3
	s_or_b32 exec_lo, exec_lo, s21
	s_delay_alu instid0(VALU_DEP_1) | instskip(NEXT) | instid1(VALU_DEP_1)
	v_dual_max_f32 v19, v19, v19 :: v_dual_max_f32 v20, v20, v20
                                        ; implicit-def: $vgpr151
                                        ; implicit-def: $vgpr160
	v_max_f32_e32 v161, v20, v19
                                        ; implicit-def: $vgpr19_vgpr20
.LBB2_298:                              ;   in Loop: Header=BB2_130 Depth=3
	s_and_not1_saveexec_b32 s9, s9
	s_cbranch_execz .LBB2_308
; %bb.299:                              ;   in Loop: Header=BB2_130 Depth=3
	s_mov_b32 s10, 0
	s_mov_b32 s22, exec_lo
                                        ; implicit-def: $sgpr21
	v_cmpx_lt_i16_e64 0x7f, v160
	s_xor_b32 s22, exec_lo, s22
	s_cbranch_execnz .LBB2_458
; %bb.300:                              ;   in Loop: Header=BB2_130 Depth=3
	s_or_saveexec_b32 s22, s22
	v_mov_b32_e32 v20, s21
	s_xor_b32 exec_lo, exec_lo, s22
	s_cbranch_execnz .LBB2_461
.LBB2_301:                              ;   in Loop: Header=BB2_130 Depth=3
	s_or_b32 exec_lo, exec_lo, s22
	s_and_saveexec_b32 s21, s10
	s_cbranch_execz .LBB2_303
.LBB2_302:                              ;   in Loop: Header=BB2_130 Depth=3
	v_and_b32_e32 v20, 0xffff, v160
	s_delay_alu instid0(VALU_DEP_1) | instskip(NEXT) | instid1(VALU_DEP_1)
	v_and_b32_e32 v160, 3, v20
	v_clz_i32_u32_e32 v161, v160
	s_delay_alu instid0(VALU_DEP_1) | instskip(NEXT) | instid1(VALU_DEP_1)
	v_min_u32_e32 v161, 32, v161
	v_subrev_nc_u32_e32 v162, 29, v161
	v_sub_nc_u32_e32 v161, 30, v161
	s_delay_alu instid0(VALU_DEP_2) | instskip(SKIP_1) | instid1(VALU_DEP_2)
	v_lshlrev_b32_e32 v162, v162, v20
	v_bfe_u32 v20, v20, 2, 5
	v_and_b32_e32 v162, 3, v162
	s_delay_alu instid0(VALU_DEP_2) | instskip(SKIP_1) | instid1(VALU_DEP_1)
	v_cmp_eq_u32_e32 vcc_lo, 0, v20
	v_dual_cndmask_b32 v20, v20, v161 :: v_dual_lshlrev_b32 v19, 16, v19
	v_dual_cndmask_b32 v160, v160, v162 :: v_dual_and_b32 v19, 0x80000000, v19
	s_delay_alu instid0(VALU_DEP_2) | instskip(NEXT) | instid1(VALU_DEP_2)
	v_lshl_add_u32 v20, v20, 23, 0x37800000
	v_lshlrev_b32_e32 v160, 21, v160
	s_delay_alu instid0(VALU_DEP_1)
	v_or3_b32 v20, v19, v20, v160
.LBB2_303:                              ;   in Loop: Header=BB2_130 Depth=3
	s_or_b32 exec_lo, exec_lo, s21
	s_mov_b32 s10, 0
	s_mov_b32 s22, exec_lo
                                        ; implicit-def: $sgpr21
	v_cmpx_lt_i16_e64 0x7f, v151
	s_xor_b32 s22, exec_lo, s22
	s_cbranch_execnz .LBB2_462
; %bb.304:                              ;   in Loop: Header=BB2_130 Depth=3
	s_or_saveexec_b32 s22, s22
	v_mov_b32_e32 v19, s21
	s_xor_b32 exec_lo, exec_lo, s22
	s_cbranch_execnz .LBB2_465
.LBB2_305:                              ;   in Loop: Header=BB2_130 Depth=3
	s_or_b32 exec_lo, exec_lo, s22
	s_and_saveexec_b32 s21, s10
	s_cbranch_execz .LBB2_307
.LBB2_306:                              ;   in Loop: Header=BB2_130 Depth=3
	v_and_b32_e32 v19, 0xffff, v151
	s_delay_alu instid0(VALU_DEP_1) | instskip(NEXT) | instid1(VALU_DEP_1)
	v_and_b32_e32 v151, 3, v19
	v_clz_i32_u32_e32 v160, v151
	s_delay_alu instid0(VALU_DEP_1) | instskip(NEXT) | instid1(VALU_DEP_1)
	v_min_u32_e32 v160, 32, v160
	v_subrev_nc_u32_e32 v161, 29, v160
	v_sub_nc_u32_e32 v160, 30, v160
	s_delay_alu instid0(VALU_DEP_2) | instskip(SKIP_1) | instid1(VALU_DEP_2)
	v_lshlrev_b32_e32 v161, v161, v19
	v_bfe_u32 v19, v19, 2, 5
	v_and_b32_e32 v161, 3, v161
	s_delay_alu instid0(VALU_DEP_2) | instskip(SKIP_1) | instid1(VALU_DEP_1)
	v_cmp_eq_u32_e32 vcc_lo, 0, v19
	v_dual_cndmask_b32 v19, v19, v160 :: v_dual_lshlrev_b32 v162, 16, v97
	v_dual_cndmask_b32 v151, v151, v161 :: v_dual_and_b32 v160, 0x80000000, v162
	s_delay_alu instid0(VALU_DEP_2) | instskip(NEXT) | instid1(VALU_DEP_2)
	v_lshl_add_u32 v19, v19, 23, 0x37800000
	v_lshlrev_b32_e32 v151, 21, v151
	s_delay_alu instid0(VALU_DEP_1)
	v_or3_b32 v19, v160, v19, v151
.LBB2_307:                              ;   in Loop: Header=BB2_130 Depth=3
	s_or_b32 exec_lo, exec_lo, s21
	s_delay_alu instid0(VALU_DEP_1) | instskip(NEXT) | instid1(VALU_DEP_1)
	v_dual_max_f32 v19, v19, v19 :: v_dual_max_f32 v20, v20, v20
	v_min_f32_e32 v161, v20, v19
.LBB2_308:                              ;   in Loop: Header=BB2_130 Depth=3
	s_or_b32 exec_lo, exec_lo, s9
	s_delay_alu instid0(VALU_DEP_1) | instskip(NEXT) | instid1(VALU_DEP_1)
	v_and_b32_e32 v19, 0x7f800000, v161
	v_cmp_ne_u32_e32 vcc_lo, 0x7f800000, v19
	v_mov_b32_e32 v19, 0x80
	s_and_saveexec_b32 s10, vcc_lo
	s_cbranch_execz .LBB2_316
; %bb.309:                              ;   in Loop: Header=BB2_130 Depth=3
	v_mov_b32_e32 v19, 0
	s_mov_b32 s21, exec_lo
	v_cmpx_ne_u32_e32 0, v161
	s_cbranch_execz .LBB2_315
; %bb.310:                              ;   in Loop: Header=BB2_130 Depth=3
	v_bfe_u32 v19, v161, 23, 8
	s_delay_alu instid0(VALU_DEP_1) | instskip(SKIP_1) | instid1(VALU_DEP_2)
	v_sub_nc_u32_e32 v151, 0x70, v19
	v_cmp_gt_u32_e32 vcc_lo, 0x71, v19
	v_dual_cndmask_b32 v151, 0, v151 :: v_dual_and_b32 v20, 0x7fffff, v161
	s_delay_alu instid0(VALU_DEP_1) | instskip(SKIP_2) | instid1(VALU_DEP_4)
	v_or_b32_e32 v160, 0x800000, v20
	v_cmp_eq_u32_e32 vcc_lo, 0, v19
	v_add_nc_u32_e32 v19, 0xffffff91, v19
	v_cndmask_b32_e64 v151, v151, 0x6f, vcc_lo
	s_delay_alu instid0(VALU_DEP_4) | instskip(NEXT) | instid1(VALU_DEP_3)
	v_cndmask_b32_e32 v20, v160, v20, vcc_lo
	v_cndmask_b32_e64 v19, v19, 0xffffff92, vcc_lo
	s_delay_alu instid0(VALU_DEP_3) | instskip(NEXT) | instid1(VALU_DEP_3)
	v_lshl_add_u32 v160, 0x200000, v151, -1
	v_lshrrev_b32_e32 v162, v151, v20
	v_lshlrev_b32_e64 v164, v151, 0x100000
	s_delay_alu instid0(VALU_DEP_4) | instskip(NEXT) | instid1(VALU_DEP_4)
	v_add_nc_u32_e32 v151, v151, v19
	v_and_b32_e32 v20, v160, v20
	s_delay_alu instid0(VALU_DEP_4) | instskip(NEXT) | instid1(VALU_DEP_2)
	v_bfe_u32 v163, v162, 21, 1
	v_cmp_eq_u32_e64 s9, v20, v164
	s_delay_alu instid0(VALU_DEP_2) | instskip(NEXT) | instid1(VALU_DEP_1)
	v_add_nc_u32_e32 v160, -1, v163
	v_cndmask_b32_e64 v20, 0, v160, s9
	v_lshrrev_b32_e32 v160, 23, v162
	s_mov_b32 s9, exec_lo
	s_delay_alu instid0(VALU_DEP_2) | instskip(NEXT) | instid1(VALU_DEP_2)
	v_add_nc_u32_e32 v20, v20, v162
	v_xor_b32_e32 v160, 1, v160
	s_delay_alu instid0(VALU_DEP_2) | instskip(NEXT) | instid1(VALU_DEP_1)
	v_and_b32_e32 v19, 0x1fffff, v20
	v_add_nc_u32_e32 v20, v19, v162
                                        ; implicit-def: $vgpr19
	s_delay_alu instid0(VALU_DEP_3)
	v_cmpx_ne_u32_e64 v151, v160
	s_xor_b32 s9, exec_lo, s9
; %bb.311:                              ;   in Loop: Header=BB2_130 Depth=3
	s_delay_alu instid0(VALU_DEP_2) | instskip(SKIP_2) | instid1(VALU_DEP_2)
	v_cmp_lt_u32_e32 vcc_lo, 0xffffff, v20
	v_sub_nc_u32_e32 v19, v151, v160
	v_cndmask_b32_e64 v151, 0, 1, vcc_lo
	v_add_co_ci_u32_e32 v19, vcc_lo, 0, v19, vcc_lo
	s_delay_alu instid0(VALU_DEP_2)
	v_lshrrev_b32_e32 v20, v151, v20
; %bb.312:                              ;   in Loop: Header=BB2_130 Depth=3
	s_and_not1_saveexec_b32 s9, s9
; %bb.313:                              ;   in Loop: Header=BB2_130 Depth=3
	s_delay_alu instid0(VALU_DEP_1)
	v_bfe_u32 v19, v20, 23, 1
; %bb.314:                              ;   in Loop: Header=BB2_130 Depth=3
	s_or_b32 exec_lo, exec_lo, s9
	v_lshrrev_b32_e32 v20, 21, v20
	s_delay_alu instid0(VALU_DEP_2) | instskip(SKIP_2) | instid1(VALU_DEP_2)
	v_cmp_gt_i32_e32 vcc_lo, 32, v19
	v_lshrrev_b32_e32 v151, 24, v161
	v_min_i32_e32 v160, 31, v19
	v_dual_cndmask_b32 v20, 3, v20 :: v_dual_and_b32 v151, 0x80, v151
	s_delay_alu instid0(VALU_DEP_2) | instskip(NEXT) | instid1(VALU_DEP_2)
	v_lshlrev_b32_e32 v160, 2, v160
	v_and_b32_e32 v161, 3, v20
	v_or_b32_e32 v19, v19, v20
	s_delay_alu instid0(VALU_DEP_2) | instskip(NEXT) | instid1(VALU_DEP_2)
	v_or3_b32 v20, v160, v151, v161
	v_cmp_ne_u32_e32 vcc_lo, 0, v19
	s_delay_alu instid0(VALU_DEP_2)
	v_cndmask_b32_e32 v19, 0, v20, vcc_lo
.LBB2_315:                              ;   in Loop: Header=BB2_130 Depth=3
	s_or_b32 exec_lo, exec_lo, s21
.LBB2_316:                              ;   in Loop: Header=BB2_130 Depth=3
	s_delay_alu instid0(SALU_CYCLE_1) | instskip(SKIP_3) | instid1(SALU_CYCLE_1)
	s_or_b32 exec_lo, exec_lo, s10
	v_lshrrev_b32_e32 v151, 16, v21
	v_lshrrev_b32_e32 v20, 16, v97
                                        ; implicit-def: $vgpr160
	s_and_saveexec_b32 s9, s6
	s_xor_b32 s9, exec_lo, s9
	s_cbranch_execz .LBB2_326
; %bb.317:                              ;   in Loop: Header=BB2_130 Depth=3
	v_and_b32_e32 v161, 0xff, v151
	s_mov_b32 s10, 0
	s_mov_b32 s22, exec_lo
                                        ; implicit-def: $sgpr21
	s_delay_alu instid0(VALU_DEP_1)
	v_cmpx_lt_i16_e64 0x7f, v161
	s_xor_b32 s22, exec_lo, s22
	s_cbranch_execnz .LBB2_466
; %bb.318:                              ;   in Loop: Header=BB2_130 Depth=3
	s_or_saveexec_b32 s22, s22
	v_mov_b32_e32 v160, s21
	s_xor_b32 exec_lo, exec_lo, s22
	s_cbranch_execnz .LBB2_469
.LBB2_319:                              ;   in Loop: Header=BB2_130 Depth=3
	s_or_b32 exec_lo, exec_lo, s22
	s_and_saveexec_b32 s21, s10
	s_cbranch_execz .LBB2_321
.LBB2_320:                              ;   in Loop: Header=BB2_130 Depth=3
	v_bfe_u32 v160, v21, 16, 2
	v_bfe_u32 v163, v21, 18, 5
	s_delay_alu instid0(VALU_DEP_2) | instskip(NEXT) | instid1(VALU_DEP_2)
	v_clz_i32_u32_e32 v161, v160
	v_cmp_eq_u32_e32 vcc_lo, 0, v163
	s_delay_alu instid0(VALU_DEP_2) | instskip(NEXT) | instid1(VALU_DEP_1)
	v_min_u32_e32 v161, 32, v161
	v_subrev_nc_u32_e32 v162, 29, v161
	v_sub_nc_u32_e32 v161, 30, v161
	s_delay_alu instid0(VALU_DEP_1) | instskip(NEXT) | instid1(VALU_DEP_1)
	v_dual_cndmask_b32 v161, v163, v161 :: v_dual_lshlrev_b32 v162, v162, v151
	v_and_b32_e32 v162, 3, v162
	v_lshlrev_b32_e32 v151, 24, v151
	s_delay_alu instid0(VALU_DEP_3) | instskip(NEXT) | instid1(VALU_DEP_2)
	v_lshl_add_u32 v161, v161, 23, 0x37800000
	v_dual_cndmask_b32 v160, v160, v162 :: v_dual_and_b32 v151, 0x80000000, v151
	s_delay_alu instid0(VALU_DEP_1) | instskip(NEXT) | instid1(VALU_DEP_1)
	v_lshlrev_b32_e32 v160, 21, v160
	v_or3_b32 v160, v151, v161, v160
.LBB2_321:                              ;   in Loop: Header=BB2_130 Depth=3
	s_or_b32 exec_lo, exec_lo, s21
	v_and_b32_e32 v161, 0xff, v20
	s_mov_b32 s10, 0
	s_mov_b32 s22, exec_lo
                                        ; implicit-def: $sgpr21
	s_delay_alu instid0(VALU_DEP_1)
	v_cmpx_lt_i16_e64 0x7f, v161
	s_xor_b32 s22, exec_lo, s22
	s_cbranch_execnz .LBB2_470
; %bb.322:                              ;   in Loop: Header=BB2_130 Depth=3
	s_or_saveexec_b32 s22, s22
	v_mov_b32_e32 v151, s21
	s_xor_b32 exec_lo, exec_lo, s22
	s_cbranch_execnz .LBB2_473
.LBB2_323:                              ;   in Loop: Header=BB2_130 Depth=3
	s_or_b32 exec_lo, exec_lo, s22
	s_and_saveexec_b32 s21, s10
	s_cbranch_execz .LBB2_325
.LBB2_324:                              ;   in Loop: Header=BB2_130 Depth=3
	v_bfe_u32 v151, v97, 16, 2
	v_bfe_u32 v163, v97, 18, 5
	s_delay_alu instid0(VALU_DEP_2) | instskip(NEXT) | instid1(VALU_DEP_2)
	v_clz_i32_u32_e32 v161, v151
	v_cmp_eq_u32_e32 vcc_lo, 0, v163
	s_delay_alu instid0(VALU_DEP_2) | instskip(NEXT) | instid1(VALU_DEP_1)
	v_min_u32_e32 v161, 32, v161
	v_subrev_nc_u32_e32 v162, 29, v161
	v_sub_nc_u32_e32 v161, 30, v161
	s_delay_alu instid0(VALU_DEP_1) | instskip(NEXT) | instid1(VALU_DEP_1)
	v_dual_cndmask_b32 v161, v163, v161 :: v_dual_lshlrev_b32 v162, v162, v20
	v_and_b32_e32 v162, 3, v162
	v_lshlrev_b32_e32 v20, 24, v20
	s_delay_alu instid0(VALU_DEP_3) | instskip(NEXT) | instid1(VALU_DEP_2)
	v_lshl_add_u32 v161, v161, 23, 0x37800000
	v_dual_cndmask_b32 v151, v151, v162 :: v_dual_and_b32 v20, 0x80000000, v20
	s_delay_alu instid0(VALU_DEP_1) | instskip(NEXT) | instid1(VALU_DEP_1)
	v_lshlrev_b32_e32 v151, 21, v151
	v_or3_b32 v151, v20, v161, v151
.LBB2_325:                              ;   in Loop: Header=BB2_130 Depth=3
	s_or_b32 exec_lo, exec_lo, s21
	s_delay_alu instid0(VALU_DEP_1) | instskip(NEXT) | instid1(VALU_DEP_1)
	v_dual_max_f32 v20, v151, v151 :: v_dual_max_f32 v151, v160, v160
	v_max_f32_e32 v160, v151, v20
                                        ; implicit-def: $vgpr20
                                        ; implicit-def: $vgpr151
.LBB2_326:                              ;   in Loop: Header=BB2_130 Depth=3
	s_and_not1_saveexec_b32 s9, s9
	s_cbranch_execz .LBB2_336
; %bb.327:                              ;   in Loop: Header=BB2_130 Depth=3
	v_and_b32_e32 v161, 0xff, v151
	s_mov_b32 s10, 0
	s_mov_b32 s22, exec_lo
                                        ; implicit-def: $sgpr21
	s_delay_alu instid0(VALU_DEP_1)
	v_cmpx_lt_i16_e64 0x7f, v161
	s_xor_b32 s22, exec_lo, s22
	s_cbranch_execnz .LBB2_474
; %bb.328:                              ;   in Loop: Header=BB2_130 Depth=3
	s_or_saveexec_b32 s22, s22
	v_mov_b32_e32 v160, s21
	s_xor_b32 exec_lo, exec_lo, s22
	s_cbranch_execnz .LBB2_477
.LBB2_329:                              ;   in Loop: Header=BB2_130 Depth=3
	s_or_b32 exec_lo, exec_lo, s22
	s_and_saveexec_b32 s21, s10
	s_cbranch_execz .LBB2_331
.LBB2_330:                              ;   in Loop: Header=BB2_130 Depth=3
	v_bfe_u32 v160, v21, 16, 2
	v_bfe_u32 v163, v21, 18, 5
	s_delay_alu instid0(VALU_DEP_2) | instskip(NEXT) | instid1(VALU_DEP_2)
	v_clz_i32_u32_e32 v161, v160
	v_cmp_eq_u32_e32 vcc_lo, 0, v163
	s_delay_alu instid0(VALU_DEP_2) | instskip(NEXT) | instid1(VALU_DEP_1)
	v_min_u32_e32 v161, 32, v161
	v_subrev_nc_u32_e32 v162, 29, v161
	v_sub_nc_u32_e32 v161, 30, v161
	s_delay_alu instid0(VALU_DEP_1) | instskip(NEXT) | instid1(VALU_DEP_1)
	v_dual_cndmask_b32 v161, v163, v161 :: v_dual_lshlrev_b32 v162, v162, v151
	v_and_b32_e32 v162, 3, v162
	v_lshlrev_b32_e32 v151, 24, v151
	s_delay_alu instid0(VALU_DEP_3) | instskip(NEXT) | instid1(VALU_DEP_2)
	v_lshl_add_u32 v161, v161, 23, 0x37800000
	v_dual_cndmask_b32 v160, v160, v162 :: v_dual_and_b32 v151, 0x80000000, v151
	s_delay_alu instid0(VALU_DEP_1) | instskip(NEXT) | instid1(VALU_DEP_1)
	v_lshlrev_b32_e32 v160, 21, v160
	v_or3_b32 v160, v151, v161, v160
.LBB2_331:                              ;   in Loop: Header=BB2_130 Depth=3
	s_or_b32 exec_lo, exec_lo, s21
	v_and_b32_e32 v161, 0xff, v20
	s_mov_b32 s10, 0
	s_mov_b32 s22, exec_lo
                                        ; implicit-def: $sgpr21
	s_delay_alu instid0(VALU_DEP_1)
	v_cmpx_lt_i16_e64 0x7f, v161
	s_xor_b32 s22, exec_lo, s22
	s_cbranch_execnz .LBB2_478
; %bb.332:                              ;   in Loop: Header=BB2_130 Depth=3
	s_or_saveexec_b32 s22, s22
	v_mov_b32_e32 v151, s21
	s_xor_b32 exec_lo, exec_lo, s22
	s_cbranch_execnz .LBB2_481
.LBB2_333:                              ;   in Loop: Header=BB2_130 Depth=3
	s_or_b32 exec_lo, exec_lo, s22
	s_and_saveexec_b32 s21, s10
	s_cbranch_execz .LBB2_335
.LBB2_334:                              ;   in Loop: Header=BB2_130 Depth=3
	v_bfe_u32 v151, v97, 16, 2
	v_bfe_u32 v163, v97, 18, 5
	s_delay_alu instid0(VALU_DEP_2) | instskip(NEXT) | instid1(VALU_DEP_2)
	v_clz_i32_u32_e32 v161, v151
	v_cmp_eq_u32_e32 vcc_lo, 0, v163
	s_delay_alu instid0(VALU_DEP_2) | instskip(NEXT) | instid1(VALU_DEP_1)
	v_min_u32_e32 v161, 32, v161
	v_subrev_nc_u32_e32 v162, 29, v161
	v_sub_nc_u32_e32 v161, 30, v161
	s_delay_alu instid0(VALU_DEP_1) | instskip(NEXT) | instid1(VALU_DEP_1)
	v_dual_cndmask_b32 v161, v163, v161 :: v_dual_lshlrev_b32 v162, v162, v20
	v_and_b32_e32 v162, 3, v162
	v_lshlrev_b32_e32 v20, 24, v20
	s_delay_alu instid0(VALU_DEP_3) | instskip(NEXT) | instid1(VALU_DEP_2)
	v_lshl_add_u32 v161, v161, 23, 0x37800000
	v_dual_cndmask_b32 v151, v151, v162 :: v_dual_and_b32 v20, 0x80000000, v20
	s_delay_alu instid0(VALU_DEP_1) | instskip(NEXT) | instid1(VALU_DEP_1)
	v_lshlrev_b32_e32 v151, 21, v151
	v_or3_b32 v151, v20, v161, v151
.LBB2_335:                              ;   in Loop: Header=BB2_130 Depth=3
	s_or_b32 exec_lo, exec_lo, s21
	s_delay_alu instid0(VALU_DEP_1) | instskip(NEXT) | instid1(VALU_DEP_1)
	v_dual_max_f32 v20, v151, v151 :: v_dual_max_f32 v151, v160, v160
	v_min_f32_e32 v160, v151, v20
.LBB2_336:                              ;   in Loop: Header=BB2_130 Depth=3
	s_or_b32 exec_lo, exec_lo, s9
	s_delay_alu instid0(VALU_DEP_1) | instskip(SKIP_2) | instid1(VALU_DEP_2)
	v_and_b32_e32 v20, 0x7f800000, v160
	v_mov_b32_e32 v151, 0x80
	s_mov_b32 s10, exec_lo
	v_cmpx_ne_u32_e32 0x7f800000, v20
	s_cbranch_execz .LBB2_344
; %bb.337:                              ;   in Loop: Header=BB2_130 Depth=3
	v_mov_b32_e32 v151, 0
	s_mov_b32 s21, exec_lo
	v_cmpx_ne_u32_e32 0, v160
	s_cbranch_execz .LBB2_343
; %bb.338:                              ;   in Loop: Header=BB2_130 Depth=3
	v_bfe_u32 v20, v160, 23, 8
	v_and_b32_e32 v151, 0x7fffff, v160
	s_delay_alu instid0(VALU_DEP_2) | instskip(SKIP_1) | instid1(VALU_DEP_3)
	v_sub_nc_u32_e32 v161, 0x70, v20
	v_cmp_gt_u32_e32 vcc_lo, 0x71, v20
	v_or_b32_e32 v162, 0x800000, v151
	s_delay_alu instid0(VALU_DEP_3) | instskip(SKIP_2) | instid1(VALU_DEP_3)
	v_cndmask_b32_e32 v161, 0, v161, vcc_lo
	v_cmp_eq_u32_e32 vcc_lo, 0, v20
	v_add_nc_u32_e32 v20, 0xffffff91, v20
	v_cndmask_b32_e64 v161, v161, 0x6f, vcc_lo
	v_cndmask_b32_e32 v151, v162, v151, vcc_lo
	s_delay_alu instid0(VALU_DEP_3) | instskip(NEXT) | instid1(VALU_DEP_3)
	v_cndmask_b32_e64 v20, v20, 0xffffff92, vcc_lo
	v_lshl_add_u32 v162, 0x200000, v161, -1
	s_delay_alu instid0(VALU_DEP_3) | instskip(SKIP_1) | instid1(VALU_DEP_4)
	v_lshrrev_b32_e32 v163, v161, v151
	v_lshlrev_b32_e64 v165, v161, 0x100000
	v_add_nc_u32_e32 v161, v161, v20
	s_delay_alu instid0(VALU_DEP_4) | instskip(NEXT) | instid1(VALU_DEP_4)
	v_and_b32_e32 v151, v162, v151
	v_bfe_u32 v164, v163, 21, 1
	s_delay_alu instid0(VALU_DEP_2) | instskip(NEXT) | instid1(VALU_DEP_2)
	v_cmp_eq_u32_e64 s9, v151, v165
	v_add_nc_u32_e32 v162, -1, v164
	s_delay_alu instid0(VALU_DEP_1) | instskip(SKIP_2) | instid1(VALU_DEP_2)
	v_cndmask_b32_e64 v151, 0, v162, s9
	v_lshrrev_b32_e32 v162, 23, v163
	s_mov_b32 s9, exec_lo
	v_add_nc_u32_e32 v151, v151, v163
	s_delay_alu instid0(VALU_DEP_2) | instskip(NEXT) | instid1(VALU_DEP_2)
	v_xor_b32_e32 v162, 1, v162
	v_and_b32_e32 v20, 0x1fffff, v151
	s_delay_alu instid0(VALU_DEP_1) | instskip(NEXT) | instid1(VALU_DEP_3)
	v_add_nc_u32_e32 v151, v20, v163
                                        ; implicit-def: $vgpr20
	v_cmpx_ne_u32_e64 v161, v162
	s_xor_b32 s9, exec_lo, s9
; %bb.339:                              ;   in Loop: Header=BB2_130 Depth=3
	s_delay_alu instid0(VALU_DEP_2) | instskip(SKIP_2) | instid1(VALU_DEP_2)
	v_cmp_lt_u32_e32 vcc_lo, 0xffffff, v151
	v_sub_nc_u32_e32 v20, v161, v162
	v_cndmask_b32_e64 v161, 0, 1, vcc_lo
	v_add_co_ci_u32_e32 v20, vcc_lo, 0, v20, vcc_lo
	s_delay_alu instid0(VALU_DEP_2)
	v_lshrrev_b32_e32 v151, v161, v151
; %bb.340:                              ;   in Loop: Header=BB2_130 Depth=3
	s_and_not1_saveexec_b32 s9, s9
; %bb.341:                              ;   in Loop: Header=BB2_130 Depth=3
	s_delay_alu instid0(VALU_DEP_1)
	v_bfe_u32 v20, v151, 23, 1
; %bb.342:                              ;   in Loop: Header=BB2_130 Depth=3
	s_or_b32 exec_lo, exec_lo, s9
	v_lshrrev_b32_e32 v151, 21, v151
	s_delay_alu instid0(VALU_DEP_2) | instskip(SKIP_2) | instid1(VALU_DEP_3)
	v_min_i32_e32 v161, 31, v20
	v_cmp_gt_i32_e32 vcc_lo, 32, v20
	v_lshrrev_b32_e32 v160, 24, v160
	v_lshlrev_b32_e32 v161, 2, v161
	s_delay_alu instid0(VALU_DEP_2) | instskip(NEXT) | instid1(VALU_DEP_2)
	v_dual_cndmask_b32 v151, 3, v151 :: v_dual_and_b32 v160, 0x80, v160
	v_and_b32_e32 v161, 0xfc, v161
	s_delay_alu instid0(VALU_DEP_2) | instskip(SKIP_1) | instid1(VALU_DEP_2)
	v_and_b32_e32 v162, 3, v151
	v_or_b32_e32 v20, v20, v151
	v_or3_b32 v151, v161, v160, v162
	s_delay_alu instid0(VALU_DEP_2) | instskip(NEXT) | instid1(VALU_DEP_2)
	v_cmp_ne_u32_e32 vcc_lo, 0, v20
	v_cndmask_b32_e32 v151, 0, v151, vcc_lo
.LBB2_343:                              ;   in Loop: Header=BB2_130 Depth=3
	s_or_b32 exec_lo, exec_lo, s21
.LBB2_344:                              ;   in Loop: Header=BB2_130 Depth=3
	s_delay_alu instid0(SALU_CYCLE_1) | instskip(SKIP_3) | instid1(SALU_CYCLE_1)
	s_or_b32 exec_lo, exec_lo, s10
	v_lshrrev_b32_e32 v20, 24, v21
	v_lshrrev_b32_e32 v160, 24, v97
                                        ; implicit-def: $vgpr161
	s_and_saveexec_b32 s9, s6
	s_xor_b32 s9, exec_lo, s9
	s_cbranch_execz .LBB2_354
; %bb.345:                              ;   in Loop: Header=BB2_130 Depth=3
	s_mov_b32 s10, 0
	s_mov_b32 s22, exec_lo
                                        ; implicit-def: $sgpr21
	v_cmpx_lt_i16_e32 0x7f, v20
	s_xor_b32 s22, exec_lo, s22
	s_cbranch_execnz .LBB2_482
; %bb.346:                              ;   in Loop: Header=BB2_130 Depth=3
	s_or_saveexec_b32 s22, s22
	v_mov_b32_e32 v161, s21
	s_xor_b32 exec_lo, exec_lo, s22
	s_cbranch_execnz .LBB2_485
.LBB2_347:                              ;   in Loop: Header=BB2_130 Depth=3
	s_or_b32 exec_lo, exec_lo, s22
	s_and_saveexec_b32 s21, s10
	s_cbranch_execz .LBB2_349
.LBB2_348:                              ;   in Loop: Header=BB2_130 Depth=3
	v_bfe_u32 v161, v21, 24, 2
	s_delay_alu instid0(VALU_DEP_1) | instskip(NEXT) | instid1(VALU_DEP_1)
	v_clz_i32_u32_e32 v162, v161
	v_min_u32_e32 v162, 32, v162
	s_delay_alu instid0(VALU_DEP_1) | instskip(SKIP_1) | instid1(VALU_DEP_2)
	v_subrev_nc_u32_e32 v163, 29, v162
	v_sub_nc_u32_e32 v162, 30, v162
	v_lshlrev_b32_e32 v20, v163, v20
	v_bfe_u32 v163, v21, 26, 5
	v_and_b32_e32 v21, 0x80000000, v21
	s_delay_alu instid0(VALU_DEP_3) | instskip(NEXT) | instid1(VALU_DEP_3)
	v_and_b32_e32 v20, 3, v20
	v_cmp_eq_u32_e32 vcc_lo, 0, v163
	v_cndmask_b32_e32 v162, v163, v162, vcc_lo
	s_delay_alu instid0(VALU_DEP_3) | instskip(NEXT) | instid1(VALU_DEP_2)
	v_cndmask_b32_e32 v20, v161, v20, vcc_lo
	v_lshl_add_u32 v161, v162, 23, 0x37800000
	s_delay_alu instid0(VALU_DEP_2) | instskip(NEXT) | instid1(VALU_DEP_1)
	v_lshlrev_b32_e32 v20, 21, v20
	v_or3_b32 v161, v21, v161, v20
.LBB2_349:                              ;   in Loop: Header=BB2_130 Depth=3
	s_or_b32 exec_lo, exec_lo, s21
	s_mov_b32 s10, 0
	s_mov_b32 s22, exec_lo
                                        ; implicit-def: $sgpr21
	v_cmpx_lt_i16_e64 0x7f, v160
	s_xor_b32 s22, exec_lo, s22
	s_cbranch_execnz .LBB2_486
; %bb.350:                              ;   in Loop: Header=BB2_130 Depth=3
	s_or_saveexec_b32 s22, s22
	v_mov_b32_e32 v20, s21
	s_xor_b32 exec_lo, exec_lo, s22
	s_cbranch_execnz .LBB2_489
.LBB2_351:                              ;   in Loop: Header=BB2_130 Depth=3
	s_or_b32 exec_lo, exec_lo, s22
	s_and_saveexec_b32 s21, s10
	s_cbranch_execz .LBB2_353
.LBB2_352:                              ;   in Loop: Header=BB2_130 Depth=3
	v_bfe_u32 v20, v97, 24, 2
	s_delay_alu instid0(VALU_DEP_1) | instskip(NEXT) | instid1(VALU_DEP_1)
	v_clz_i32_u32_e32 v21, v20
	v_min_u32_e32 v21, 32, v21
	s_delay_alu instid0(VALU_DEP_1) | instskip(SKIP_1) | instid1(VALU_DEP_2)
	v_subrev_nc_u32_e32 v162, 29, v21
	v_sub_nc_u32_e32 v21, 30, v21
	v_lshlrev_b32_e32 v160, v162, v160
	v_bfe_u32 v162, v97, 26, 5
	v_and_b32_e32 v97, 0x80000000, v97
	s_delay_alu instid0(VALU_DEP_2) | instskip(NEXT) | instid1(VALU_DEP_4)
	v_cmp_eq_u32_e32 vcc_lo, 0, v162
	v_dual_cndmask_b32 v21, v162, v21 :: v_dual_and_b32 v160, 3, v160
	s_delay_alu instid0(VALU_DEP_1) | instskip(NEXT) | instid1(VALU_DEP_2)
	v_cndmask_b32_e32 v20, v20, v160, vcc_lo
	v_lshl_add_u32 v21, v21, 23, 0x37800000
	s_delay_alu instid0(VALU_DEP_2) | instskip(NEXT) | instid1(VALU_DEP_1)
	v_lshlrev_b32_e32 v20, 21, v20
	v_or3_b32 v20, v97, v21, v20
.LBB2_353:                              ;   in Loop: Header=BB2_130 Depth=3
	s_or_b32 exec_lo, exec_lo, s21
	s_delay_alu instid0(VALU_DEP_1) | instskip(NEXT) | instid1(VALU_DEP_1)
	v_dual_max_f32 v20, v20, v20 :: v_dual_max_f32 v21, v161, v161
                                        ; implicit-def: $vgpr97
                                        ; implicit-def: $vgpr160
	v_max_f32_e32 v161, v21, v20
                                        ; implicit-def: $vgpr20_vgpr21
                                        ; implicit-def: $vgpr20
.LBB2_354:                              ;   in Loop: Header=BB2_130 Depth=3
	s_and_not1_saveexec_b32 s9, s9
	s_cbranch_execz .LBB2_364
; %bb.355:                              ;   in Loop: Header=BB2_130 Depth=3
	s_mov_b32 s10, 0
	s_mov_b32 s22, exec_lo
                                        ; implicit-def: $sgpr21
	v_cmpx_lt_i16_e32 0x7f, v20
	s_xor_b32 s22, exec_lo, s22
	s_cbranch_execnz .LBB2_490
; %bb.356:                              ;   in Loop: Header=BB2_130 Depth=3
	s_or_saveexec_b32 s22, s22
	v_mov_b32_e32 v161, s21
	s_xor_b32 exec_lo, exec_lo, s22
	s_cbranch_execnz .LBB2_493
.LBB2_357:                              ;   in Loop: Header=BB2_130 Depth=3
	s_or_b32 exec_lo, exec_lo, s22
	s_and_saveexec_b32 s21, s10
	s_cbranch_execz .LBB2_359
.LBB2_358:                              ;   in Loop: Header=BB2_130 Depth=3
	v_bfe_u32 v161, v21, 24, 2
	s_delay_alu instid0(VALU_DEP_1) | instskip(NEXT) | instid1(VALU_DEP_1)
	v_clz_i32_u32_e32 v162, v161
	v_min_u32_e32 v162, 32, v162
	s_delay_alu instid0(VALU_DEP_1) | instskip(SKIP_1) | instid1(VALU_DEP_2)
	v_subrev_nc_u32_e32 v163, 29, v162
	v_sub_nc_u32_e32 v162, 30, v162
	v_lshlrev_b32_e32 v20, v163, v20
	v_bfe_u32 v163, v21, 26, 5
	v_and_b32_e32 v21, 0x80000000, v21
	s_delay_alu instid0(VALU_DEP_3) | instskip(NEXT) | instid1(VALU_DEP_3)
	v_and_b32_e32 v20, 3, v20
	v_cmp_eq_u32_e32 vcc_lo, 0, v163
	v_cndmask_b32_e32 v162, v163, v162, vcc_lo
	s_delay_alu instid0(VALU_DEP_3) | instskip(NEXT) | instid1(VALU_DEP_2)
	v_cndmask_b32_e32 v20, v161, v20, vcc_lo
	v_lshl_add_u32 v161, v162, 23, 0x37800000
	s_delay_alu instid0(VALU_DEP_2) | instskip(NEXT) | instid1(VALU_DEP_1)
	v_lshlrev_b32_e32 v20, 21, v20
	v_or3_b32 v161, v21, v161, v20
.LBB2_359:                              ;   in Loop: Header=BB2_130 Depth=3
	s_or_b32 exec_lo, exec_lo, s21
	s_mov_b32 s10, 0
	s_mov_b32 s22, exec_lo
                                        ; implicit-def: $sgpr21
	v_cmpx_lt_i16_e64 0x7f, v160
	s_xor_b32 s22, exec_lo, s22
	s_cbranch_execnz .LBB2_494
; %bb.360:                              ;   in Loop: Header=BB2_130 Depth=3
	s_or_saveexec_b32 s22, s22
	v_mov_b32_e32 v20, s21
	s_xor_b32 exec_lo, exec_lo, s22
	s_cbranch_execnz .LBB2_497
.LBB2_361:                              ;   in Loop: Header=BB2_130 Depth=3
	s_or_b32 exec_lo, exec_lo, s22
	s_and_saveexec_b32 s21, s10
	s_cbranch_execz .LBB2_363
.LBB2_362:                              ;   in Loop: Header=BB2_130 Depth=3
	v_bfe_u32 v20, v97, 24, 2
	s_delay_alu instid0(VALU_DEP_1) | instskip(NEXT) | instid1(VALU_DEP_1)
	v_clz_i32_u32_e32 v21, v20
	v_min_u32_e32 v21, 32, v21
	s_delay_alu instid0(VALU_DEP_1) | instskip(SKIP_1) | instid1(VALU_DEP_2)
	v_subrev_nc_u32_e32 v162, 29, v21
	v_sub_nc_u32_e32 v21, 30, v21
	v_lshlrev_b32_e32 v160, v162, v160
	v_bfe_u32 v162, v97, 26, 5
	v_and_b32_e32 v97, 0x80000000, v97
	s_delay_alu instid0(VALU_DEP_2) | instskip(NEXT) | instid1(VALU_DEP_4)
	v_cmp_eq_u32_e32 vcc_lo, 0, v162
	v_dual_cndmask_b32 v21, v162, v21 :: v_dual_and_b32 v160, 3, v160
	s_delay_alu instid0(VALU_DEP_1) | instskip(NEXT) | instid1(VALU_DEP_2)
	v_cndmask_b32_e32 v20, v20, v160, vcc_lo
	v_lshl_add_u32 v21, v21, 23, 0x37800000
	s_delay_alu instid0(VALU_DEP_2) | instskip(NEXT) | instid1(VALU_DEP_1)
	v_lshlrev_b32_e32 v20, 21, v20
	v_or3_b32 v20, v97, v21, v20
.LBB2_363:                              ;   in Loop: Header=BB2_130 Depth=3
	s_or_b32 exec_lo, exec_lo, s21
	s_delay_alu instid0(VALU_DEP_1) | instskip(NEXT) | instid1(VALU_DEP_1)
	v_dual_max_f32 v20, v20, v20 :: v_dual_max_f32 v21, v161, v161
	v_min_f32_e32 v161, v21, v20
.LBB2_364:                              ;   in Loop: Header=BB2_130 Depth=3
	s_or_b32 exec_lo, exec_lo, s9
	s_delay_alu instid0(VALU_DEP_1) | instskip(NEXT) | instid1(VALU_DEP_1)
	v_and_b32_e32 v20, 0x7f800000, v161
	v_cmp_ne_u32_e32 vcc_lo, 0x7f800000, v20
	v_mov_b32_e32 v20, 0x8000
	s_and_saveexec_b32 s10, vcc_lo
	s_cbranch_execz .LBB2_129
; %bb.365:                              ;   in Loop: Header=BB2_130 Depth=3
	v_mov_b32_e32 v20, 0
	s_mov_b32 s21, exec_lo
	v_cmpx_ne_u32_e32 0, v161
	s_cbranch_execz .LBB2_128
; %bb.366:                              ;   in Loop: Header=BB2_130 Depth=3
	v_bfe_u32 v20, v161, 23, 8
	v_and_b32_e32 v21, 0x7fffff, v161
	s_delay_alu instid0(VALU_DEP_2) | instskip(SKIP_1) | instid1(VALU_DEP_3)
	v_sub_nc_u32_e32 v97, 0x70, v20
	v_cmp_gt_u32_e32 vcc_lo, 0x71, v20
	v_or_b32_e32 v160, 0x800000, v21
	s_delay_alu instid0(VALU_DEP_3) | instskip(SKIP_2) | instid1(VALU_DEP_3)
	v_cndmask_b32_e32 v97, 0, v97, vcc_lo
	v_cmp_eq_u32_e32 vcc_lo, 0, v20
	v_add_nc_u32_e32 v20, 0xffffff91, v20
	v_cndmask_b32_e64 v97, v97, 0x6f, vcc_lo
	v_cndmask_b32_e32 v21, v160, v21, vcc_lo
	s_delay_alu instid0(VALU_DEP_3) | instskip(NEXT) | instid1(VALU_DEP_3)
	v_cndmask_b32_e64 v20, v20, 0xffffff92, vcc_lo
	v_lshl_add_u32 v160, 0x200000, v97, -1
	s_delay_alu instid0(VALU_DEP_3) | instskip(SKIP_1) | instid1(VALU_DEP_4)
	v_lshrrev_b32_e32 v162, v97, v21
	v_lshlrev_b32_e64 v164, v97, 0x100000
	v_add_nc_u32_e32 v97, v97, v20
	s_delay_alu instid0(VALU_DEP_4) | instskip(NEXT) | instid1(VALU_DEP_4)
	v_and_b32_e32 v21, v160, v21
	v_bfe_u32 v163, v162, 21, 1
	s_delay_alu instid0(VALU_DEP_2) | instskip(NEXT) | instid1(VALU_DEP_2)
	v_cmp_eq_u32_e64 s9, v21, v164
	v_add_nc_u32_e32 v160, -1, v163
	s_delay_alu instid0(VALU_DEP_1) | instskip(SKIP_2) | instid1(VALU_DEP_2)
	v_cndmask_b32_e64 v21, 0, v160, s9
	v_lshrrev_b32_e32 v160, 23, v162
	s_mov_b32 s9, exec_lo
	v_add_nc_u32_e32 v21, v21, v162
	s_delay_alu instid0(VALU_DEP_2) | instskip(NEXT) | instid1(VALU_DEP_2)
	v_xor_b32_e32 v160, 1, v160
	v_and_b32_e32 v20, 0x1fffff, v21
	s_delay_alu instid0(VALU_DEP_1) | instskip(NEXT) | instid1(VALU_DEP_3)
	v_add_nc_u32_e32 v21, v20, v162
                                        ; implicit-def: $vgpr20
	v_cmpx_ne_u32_e64 v97, v160
	s_xor_b32 s9, exec_lo, s9
; %bb.367:                              ;   in Loop: Header=BB2_130 Depth=3
	s_delay_alu instid0(VALU_DEP_2) | instskip(SKIP_2) | instid1(VALU_DEP_2)
	v_cmp_lt_u32_e32 vcc_lo, 0xffffff, v21
	v_sub_nc_u32_e32 v20, v97, v160
	v_cndmask_b32_e64 v97, 0, 1, vcc_lo
	v_add_co_ci_u32_e32 v20, vcc_lo, 0, v20, vcc_lo
	s_delay_alu instid0(VALU_DEP_2)
	v_lshrrev_b32_e32 v21, v97, v21
; %bb.368:                              ;   in Loop: Header=BB2_130 Depth=3
	s_and_not1_saveexec_b32 s9, s9
	s_cbranch_execz .LBB2_127
; %bb.369:                              ;   in Loop: Header=BB2_130 Depth=3
	s_delay_alu instid0(VALU_DEP_1)
	v_bfe_u32 v20, v21, 23, 1
	s_branch .LBB2_127
.LBB2_370:                              ;   in Loop: Header=BB2_130 Depth=3
	s_mov_b32 s10, -1
	s_mov_b32 s23, exec_lo
                                        ; implicit-def: $sgpr21
	v_cmpx_eq_u16_e32 0x80, v22
; %bb.371:                              ;   in Loop: Header=BB2_130 Depth=3
	s_mov_b32 s21, 0x7f800001
	s_xor_b32 s10, exec_lo, -1
; %bb.372:                              ;   in Loop: Header=BB2_130 Depth=3
	s_or_b32 exec_lo, exec_lo, s23
	s_delay_alu instid0(SALU_CYCLE_1)
	s_and_b32 s10, s10, exec_lo
                                        ; implicit-def: $vgpr22
	s_or_saveexec_b32 s22, s22
	v_mov_b32_e32 v17, s21
	s_xor_b32 exec_lo, exec_lo, s22
	s_cbranch_execz .LBB2_151
.LBB2_373:                              ;   in Loop: Header=BB2_130 Depth=3
	v_cmp_ne_u16_e32 vcc_lo, 0, v22
	v_mov_b32_e32 v17, 0
	s_and_not1_b32 s10, s10, exec_lo
	s_and_b32 s21, vcc_lo, exec_lo
	s_delay_alu instid0(SALU_CYCLE_1)
	s_or_b32 s10, s10, s21
	s_or_b32 exec_lo, exec_lo, s22
	s_and_saveexec_b32 s21, s10
	s_cbranch_execnz .LBB2_152
	s_branch .LBB2_153
.LBB2_374:                              ;   in Loop: Header=BB2_130 Depth=3
	s_mov_b32 s10, -1
	s_mov_b32 s23, exec_lo
                                        ; implicit-def: $sgpr21
	v_cmpx_eq_u16_e32 0x80, v83
; %bb.375:                              ;   in Loop: Header=BB2_130 Depth=3
	s_mov_b32 s21, 0x7f800001
	s_xor_b32 s10, exec_lo, -1
; %bb.376:                              ;   in Loop: Header=BB2_130 Depth=3
	s_or_b32 exec_lo, exec_lo, s23
	s_delay_alu instid0(SALU_CYCLE_1)
	s_and_b32 s10, s10, exec_lo
                                        ; implicit-def: $vgpr83
	s_or_saveexec_b32 s22, s22
	v_mov_b32_e32 v22, s21
	s_xor_b32 exec_lo, exec_lo, s22
	s_cbranch_execz .LBB2_155
.LBB2_377:                              ;   in Loop: Header=BB2_130 Depth=3
	v_cmp_ne_u16_e32 vcc_lo, 0, v83
	v_mov_b32_e32 v22, 0
	s_and_not1_b32 s10, s10, exec_lo
	s_and_b32 s21, vcc_lo, exec_lo
	s_delay_alu instid0(SALU_CYCLE_1)
	s_or_b32 s10, s10, s21
	s_or_b32 exec_lo, exec_lo, s22
	s_and_saveexec_b32 s21, s10
	s_cbranch_execnz .LBB2_156
	s_branch .LBB2_157
.LBB2_378:                              ;   in Loop: Header=BB2_130 Depth=3
	s_mov_b32 s10, -1
	s_mov_b32 s23, exec_lo
                                        ; implicit-def: $sgpr21
	v_cmpx_eq_u16_e32 0x80, v22
; %bb.379:                              ;   in Loop: Header=BB2_130 Depth=3
	s_mov_b32 s21, 0x7f800001
	s_xor_b32 s10, exec_lo, -1
; %bb.380:                              ;   in Loop: Header=BB2_130 Depth=3
	s_or_b32 exec_lo, exec_lo, s23
	s_delay_alu instid0(SALU_CYCLE_1)
	s_and_b32 s10, s10, exec_lo
                                        ; implicit-def: $vgpr22
	s_or_saveexec_b32 s22, s22
	v_mov_b32_e32 v17, s21
	s_xor_b32 exec_lo, exec_lo, s22
	s_cbranch_execz .LBB2_161
.LBB2_381:                              ;   in Loop: Header=BB2_130 Depth=3
	v_cmp_ne_u16_e32 vcc_lo, 0, v22
	v_mov_b32_e32 v17, 0
	s_and_not1_b32 s10, s10, exec_lo
	s_and_b32 s21, vcc_lo, exec_lo
	s_delay_alu instid0(SALU_CYCLE_1)
	s_or_b32 s10, s10, s21
	s_or_b32 exec_lo, exec_lo, s22
	s_and_saveexec_b32 s21, s10
	s_cbranch_execnz .LBB2_162
	s_branch .LBB2_163
.LBB2_382:                              ;   in Loop: Header=BB2_130 Depth=3
	s_mov_b32 s10, -1
	s_mov_b32 s23, exec_lo
                                        ; implicit-def: $sgpr21
	v_cmpx_eq_u16_e32 0x80, v83
; %bb.383:                              ;   in Loop: Header=BB2_130 Depth=3
	s_mov_b32 s21, 0x7f800001
	s_xor_b32 s10, exec_lo, -1
; %bb.384:                              ;   in Loop: Header=BB2_130 Depth=3
	s_or_b32 exec_lo, exec_lo, s23
	s_delay_alu instid0(SALU_CYCLE_1)
	s_and_b32 s10, s10, exec_lo
                                        ; implicit-def: $vgpr83
	s_or_saveexec_b32 s22, s22
	v_mov_b32_e32 v22, s21
	s_xor_b32 exec_lo, exec_lo, s22
	s_cbranch_execz .LBB2_165
.LBB2_385:                              ;   in Loop: Header=BB2_130 Depth=3
	v_cmp_ne_u16_e32 vcc_lo, 0, v83
	v_mov_b32_e32 v22, 0
	s_and_not1_b32 s10, s10, exec_lo
	s_and_b32 s21, vcc_lo, exec_lo
	s_delay_alu instid0(SALU_CYCLE_1)
	s_or_b32 s10, s10, s21
	s_or_b32 exec_lo, exec_lo, s22
	s_and_saveexec_b32 s21, s10
	s_cbranch_execnz .LBB2_166
	s_branch .LBB2_167
.LBB2_386:                              ;   in Loop: Header=BB2_130 Depth=3
	s_mov_b32 s10, -1
	s_mov_b32 s23, exec_lo
                                        ; implicit-def: $sgpr21
	v_cmpx_eq_u16_e32 0x80, v83
; %bb.387:                              ;   in Loop: Header=BB2_130 Depth=3
	s_mov_b32 s21, 0x7f800001
	s_xor_b32 s10, exec_lo, -1
; %bb.388:                              ;   in Loop: Header=BB2_130 Depth=3
	s_or_b32 exec_lo, exec_lo, s23
	s_delay_alu instid0(SALU_CYCLE_1)
	s_and_b32 s10, s10, exec_lo
	s_or_saveexec_b32 s22, s22
	v_mov_b32_e32 v97, s21
	s_xor_b32 exec_lo, exec_lo, s22
	s_cbranch_execz .LBB2_179
.LBB2_389:                              ;   in Loop: Header=BB2_130 Depth=3
	v_cmp_ne_u16_e32 vcc_lo, 0, v83
	v_mov_b32_e32 v97, 0
	s_and_not1_b32 s10, s10, exec_lo
	s_and_b32 s21, vcc_lo, exec_lo
	s_delay_alu instid0(SALU_CYCLE_1)
	s_or_b32 s10, s10, s21
	s_or_b32 exec_lo, exec_lo, s22
	s_and_saveexec_b32 s21, s10
	s_cbranch_execnz .LBB2_180
	s_branch .LBB2_181
.LBB2_390:                              ;   in Loop: Header=BB2_130 Depth=3
	s_mov_b32 s10, -1
	s_mov_b32 s23, exec_lo
                                        ; implicit-def: $sgpr21
	v_cmpx_eq_u16_e32 0x80, v22
; %bb.391:                              ;   in Loop: Header=BB2_130 Depth=3
	s_mov_b32 s21, 0x7f800001
	s_xor_b32 s10, exec_lo, -1
; %bb.392:                              ;   in Loop: Header=BB2_130 Depth=3
	s_or_b32 exec_lo, exec_lo, s23
	s_delay_alu instid0(SALU_CYCLE_1)
	s_and_b32 s10, s10, exec_lo
	s_or_saveexec_b32 s22, s22
	v_mov_b32_e32 v83, s21
	s_xor_b32 exec_lo, exec_lo, s22
	s_cbranch_execz .LBB2_183
.LBB2_393:                              ;   in Loop: Header=BB2_130 Depth=3
	v_cmp_ne_u16_e32 vcc_lo, 0, v22
	v_mov_b32_e32 v83, 0
	s_and_not1_b32 s10, s10, exec_lo
	s_and_b32 s21, vcc_lo, exec_lo
	s_delay_alu instid0(SALU_CYCLE_1)
	s_or_b32 s10, s10, s21
	s_or_b32 exec_lo, exec_lo, s22
	s_and_saveexec_b32 s21, s10
	s_cbranch_execnz .LBB2_184
	s_branch .LBB2_185
.LBB2_394:                              ;   in Loop: Header=BB2_130 Depth=3
	s_mov_b32 s10, -1
	s_mov_b32 s23, exec_lo
                                        ; implicit-def: $sgpr21
	v_cmpx_eq_u16_e32 0x80, v83
; %bb.395:                              ;   in Loop: Header=BB2_130 Depth=3
	s_mov_b32 s21, 0x7f800001
	s_xor_b32 s10, exec_lo, -1
; %bb.396:                              ;   in Loop: Header=BB2_130 Depth=3
	s_or_b32 exec_lo, exec_lo, s23
	s_delay_alu instid0(SALU_CYCLE_1)
	s_and_b32 s10, s10, exec_lo
	s_or_saveexec_b32 s22, s22
	v_mov_b32_e32 v97, s21
	s_xor_b32 exec_lo, exec_lo, s22
	s_cbranch_execz .LBB2_189
.LBB2_397:                              ;   in Loop: Header=BB2_130 Depth=3
	v_cmp_ne_u16_e32 vcc_lo, 0, v83
	v_mov_b32_e32 v97, 0
	s_and_not1_b32 s10, s10, exec_lo
	s_and_b32 s21, vcc_lo, exec_lo
	s_delay_alu instid0(SALU_CYCLE_1)
	s_or_b32 s10, s10, s21
	s_or_b32 exec_lo, exec_lo, s22
	s_and_saveexec_b32 s21, s10
	s_cbranch_execnz .LBB2_190
	s_branch .LBB2_191
.LBB2_398:                              ;   in Loop: Header=BB2_130 Depth=3
	s_mov_b32 s10, -1
	s_mov_b32 s23, exec_lo
                                        ; implicit-def: $sgpr21
	v_cmpx_eq_u16_e32 0x80, v22
; %bb.399:                              ;   in Loop: Header=BB2_130 Depth=3
	s_mov_b32 s21, 0x7f800001
	s_xor_b32 s10, exec_lo, -1
; %bb.400:                              ;   in Loop: Header=BB2_130 Depth=3
	s_or_b32 exec_lo, exec_lo, s23
	s_delay_alu instid0(SALU_CYCLE_1)
	s_and_b32 s10, s10, exec_lo
	s_or_saveexec_b32 s22, s22
	v_mov_b32_e32 v83, s21
	s_xor_b32 exec_lo, exec_lo, s22
	s_cbranch_execz .LBB2_193
.LBB2_401:                              ;   in Loop: Header=BB2_130 Depth=3
	v_cmp_ne_u16_e32 vcc_lo, 0, v22
	v_mov_b32_e32 v83, 0
	s_and_not1_b32 s10, s10, exec_lo
	s_and_b32 s21, vcc_lo, exec_lo
	s_delay_alu instid0(SALU_CYCLE_1)
	s_or_b32 s10, s10, s21
	s_or_b32 exec_lo, exec_lo, s22
	s_and_saveexec_b32 s21, s10
	s_cbranch_execnz .LBB2_194
	s_branch .LBB2_195
.LBB2_402:                              ;   in Loop: Header=BB2_130 Depth=3
	s_mov_b32 s10, -1
	s_mov_b32 s23, exec_lo
                                        ; implicit-def: $sgpr21
	v_cmpx_eq_u16_e64 0x80, v161
; %bb.403:                              ;   in Loop: Header=BB2_130 Depth=3
	s_mov_b32 s21, 0x7f800001
	s_xor_b32 s10, exec_lo, -1
; %bb.404:                              ;   in Loop: Header=BB2_130 Depth=3
	s_or_b32 exec_lo, exec_lo, s23
	s_delay_alu instid0(SALU_CYCLE_1)
	s_and_b32 s10, s10, exec_lo
                                        ; implicit-def: $vgpr161
	s_or_saveexec_b32 s22, s22
	v_mov_b32_e32 v160, s21
	s_xor_b32 exec_lo, exec_lo, s22
	s_cbranch_execz .LBB2_207
.LBB2_405:                              ;   in Loop: Header=BB2_130 Depth=3
	v_cmp_ne_u16_e64 vcc_lo, 0, v161
	v_mov_b32_e32 v160, 0
	s_and_not1_b32 s10, s10, exec_lo
	s_delay_alu instid0(VALU_DEP_2) | instskip(NEXT) | instid1(SALU_CYCLE_1)
	s_and_b32 s21, vcc_lo, exec_lo
	s_or_b32 s10, s10, s21
	s_or_b32 exec_lo, exec_lo, s22
	s_and_saveexec_b32 s21, s10
	s_cbranch_execnz .LBB2_208
	s_branch .LBB2_209
.LBB2_406:                              ;   in Loop: Header=BB2_130 Depth=3
	s_mov_b32 s10, -1
	s_mov_b32 s23, exec_lo
                                        ; implicit-def: $sgpr21
	v_cmpx_eq_u16_e64 0x80, v161
; %bb.407:                              ;   in Loop: Header=BB2_130 Depth=3
	s_mov_b32 s21, 0x7f800001
	s_xor_b32 s10, exec_lo, -1
; %bb.408:                              ;   in Loop: Header=BB2_130 Depth=3
	s_or_b32 exec_lo, exec_lo, s23
	s_delay_alu instid0(SALU_CYCLE_1)
	s_and_b32 s10, s10, exec_lo
                                        ; implicit-def: $vgpr161
	s_or_saveexec_b32 s22, s22
	v_mov_b32_e32 v97, s21
	s_xor_b32 exec_lo, exec_lo, s22
	s_cbranch_execz .LBB2_211
.LBB2_409:                              ;   in Loop: Header=BB2_130 Depth=3
	v_cmp_ne_u16_e64 vcc_lo, 0, v161
	v_mov_b32_e32 v97, 0
	s_and_not1_b32 s10, s10, exec_lo
	s_delay_alu instid0(VALU_DEP_2) | instskip(NEXT) | instid1(SALU_CYCLE_1)
	s_and_b32 s21, vcc_lo, exec_lo
	s_or_b32 s10, s10, s21
	s_or_b32 exec_lo, exec_lo, s22
	s_and_saveexec_b32 s21, s10
	s_cbranch_execnz .LBB2_212
	s_branch .LBB2_213
.LBB2_410:                              ;   in Loop: Header=BB2_130 Depth=3
	s_mov_b32 s10, -1
	s_mov_b32 s23, exec_lo
                                        ; implicit-def: $sgpr21
	v_cmpx_eq_u16_e64 0x80, v161
; %bb.411:                              ;   in Loop: Header=BB2_130 Depth=3
	s_mov_b32 s21, 0x7f800001
	s_xor_b32 s10, exec_lo, -1
; %bb.412:                              ;   in Loop: Header=BB2_130 Depth=3
	s_or_b32 exec_lo, exec_lo, s23
	s_delay_alu instid0(SALU_CYCLE_1)
	s_and_b32 s10, s10, exec_lo
                                        ; implicit-def: $vgpr161
	s_or_saveexec_b32 s22, s22
	v_mov_b32_e32 v160, s21
	s_xor_b32 exec_lo, exec_lo, s22
	s_cbranch_execz .LBB2_217
.LBB2_413:                              ;   in Loop: Header=BB2_130 Depth=3
	v_cmp_ne_u16_e64 vcc_lo, 0, v161
	v_mov_b32_e32 v160, 0
	s_and_not1_b32 s10, s10, exec_lo
	s_delay_alu instid0(VALU_DEP_2) | instskip(NEXT) | instid1(SALU_CYCLE_1)
	s_and_b32 s21, vcc_lo, exec_lo
	s_or_b32 s10, s10, s21
	s_or_b32 exec_lo, exec_lo, s22
	s_and_saveexec_b32 s21, s10
	s_cbranch_execnz .LBB2_218
	s_branch .LBB2_219
.LBB2_414:                              ;   in Loop: Header=BB2_130 Depth=3
	s_mov_b32 s10, -1
	s_mov_b32 s23, exec_lo
                                        ; implicit-def: $sgpr21
	v_cmpx_eq_u16_e64 0x80, v161
; %bb.415:                              ;   in Loop: Header=BB2_130 Depth=3
	s_mov_b32 s21, 0x7f800001
	s_xor_b32 s10, exec_lo, -1
; %bb.416:                              ;   in Loop: Header=BB2_130 Depth=3
	s_or_b32 exec_lo, exec_lo, s23
	s_delay_alu instid0(SALU_CYCLE_1)
	s_and_b32 s10, s10, exec_lo
                                        ; implicit-def: $vgpr161
	s_or_saveexec_b32 s22, s22
	v_mov_b32_e32 v97, s21
	s_xor_b32 exec_lo, exec_lo, s22
	s_cbranch_execz .LBB2_221
.LBB2_417:                              ;   in Loop: Header=BB2_130 Depth=3
	v_cmp_ne_u16_e64 vcc_lo, 0, v161
	v_mov_b32_e32 v97, 0
	s_and_not1_b32 s10, s10, exec_lo
	s_delay_alu instid0(VALU_DEP_2) | instskip(NEXT) | instid1(SALU_CYCLE_1)
	s_and_b32 s21, vcc_lo, exec_lo
	s_or_b32 s10, s10, s21
	s_or_b32 exec_lo, exec_lo, s22
	s_and_saveexec_b32 s21, s10
	s_cbranch_execnz .LBB2_222
	s_branch .LBB2_223
.LBB2_418:                              ;   in Loop: Header=BB2_130 Depth=3
	s_mov_b32 s10, -1
	s_mov_b32 s23, exec_lo
                                        ; implicit-def: $sgpr21
	v_cmpx_eq_u16_e64 0x80, v160
; %bb.419:                              ;   in Loop: Header=BB2_130 Depth=3
	s_mov_b32 s21, 0x7f800001
	s_xor_b32 s10, exec_lo, -1
; %bb.420:                              ;   in Loop: Header=BB2_130 Depth=3
	s_or_b32 exec_lo, exec_lo, s23
	s_delay_alu instid0(SALU_CYCLE_1)
	s_and_b32 s10, s10, exec_lo
	s_or_saveexec_b32 s22, s22
	v_mov_b32_e32 v161, s21
	s_xor_b32 exec_lo, exec_lo, s22
	s_cbranch_execz .LBB2_235
.LBB2_421:                              ;   in Loop: Header=BB2_130 Depth=3
	v_cmp_ne_u16_e64 vcc_lo, 0, v160
	v_mov_b32_e32 v161, 0
	s_and_not1_b32 s10, s10, exec_lo
	s_delay_alu instid0(VALU_DEP_2) | instskip(NEXT) | instid1(SALU_CYCLE_1)
	s_and_b32 s21, vcc_lo, exec_lo
	s_or_b32 s10, s10, s21
	s_or_b32 exec_lo, exec_lo, s22
	s_and_saveexec_b32 s21, s10
	s_cbranch_execnz .LBB2_236
	s_branch .LBB2_237
.LBB2_422:                              ;   in Loop: Header=BB2_130 Depth=3
	s_mov_b32 s10, -1
	s_mov_b32 s23, exec_lo
                                        ; implicit-def: $sgpr21
	v_cmpx_eq_u16_e32 0x80, v97
; %bb.423:                              ;   in Loop: Header=BB2_130 Depth=3
	s_mov_b32 s21, 0x7f800001
	s_xor_b32 s10, exec_lo, -1
; %bb.424:                              ;   in Loop: Header=BB2_130 Depth=3
	s_or_b32 exec_lo, exec_lo, s23
	s_delay_alu instid0(SALU_CYCLE_1)
	s_and_b32 s10, s10, exec_lo
	s_or_saveexec_b32 s22, s22
	v_mov_b32_e32 v19, s21
	s_xor_b32 exec_lo, exec_lo, s22
	s_cbranch_execz .LBB2_239
.LBB2_425:                              ;   in Loop: Header=BB2_130 Depth=3
	v_cmp_ne_u16_e32 vcc_lo, 0, v97
	v_mov_b32_e32 v19, 0
	s_and_not1_b32 s10, s10, exec_lo
	s_and_b32 s21, vcc_lo, exec_lo
	s_delay_alu instid0(SALU_CYCLE_1)
	s_or_b32 s10, s10, s21
	s_or_b32 exec_lo, exec_lo, s22
	s_and_saveexec_b32 s21, s10
	s_cbranch_execnz .LBB2_240
	s_branch .LBB2_241
.LBB2_426:                              ;   in Loop: Header=BB2_130 Depth=3
	s_mov_b32 s10, -1
	s_mov_b32 s23, exec_lo
                                        ; implicit-def: $sgpr21
	v_cmpx_eq_u16_e64 0x80, v160
; %bb.427:                              ;   in Loop: Header=BB2_130 Depth=3
	s_mov_b32 s21, 0x7f800001
	s_xor_b32 s10, exec_lo, -1
; %bb.428:                              ;   in Loop: Header=BB2_130 Depth=3
	s_or_b32 exec_lo, exec_lo, s23
	s_delay_alu instid0(SALU_CYCLE_1)
	s_and_b32 s10, s10, exec_lo
	s_or_saveexec_b32 s22, s22
	v_mov_b32_e32 v161, s21
	s_xor_b32 exec_lo, exec_lo, s22
	s_cbranch_execz .LBB2_245
.LBB2_429:                              ;   in Loop: Header=BB2_130 Depth=3
	v_cmp_ne_u16_e64 vcc_lo, 0, v160
	v_mov_b32_e32 v161, 0
	s_and_not1_b32 s10, s10, exec_lo
	s_delay_alu instid0(VALU_DEP_2) | instskip(NEXT) | instid1(SALU_CYCLE_1)
	s_and_b32 s21, vcc_lo, exec_lo
	s_or_b32 s10, s10, s21
	s_or_b32 exec_lo, exec_lo, s22
	s_and_saveexec_b32 s21, s10
	s_cbranch_execnz .LBB2_246
	s_branch .LBB2_247
.LBB2_430:                              ;   in Loop: Header=BB2_130 Depth=3
	s_mov_b32 s10, -1
	s_mov_b32 s23, exec_lo
                                        ; implicit-def: $sgpr21
	v_cmpx_eq_u16_e32 0x80, v97
; %bb.431:                              ;   in Loop: Header=BB2_130 Depth=3
	s_mov_b32 s21, 0x7f800001
	s_xor_b32 s10, exec_lo, -1
; %bb.432:                              ;   in Loop: Header=BB2_130 Depth=3
	s_or_b32 exec_lo, exec_lo, s23
	s_delay_alu instid0(SALU_CYCLE_1)
	s_and_b32 s10, s10, exec_lo
	s_or_saveexec_b32 s22, s22
	v_mov_b32_e32 v19, s21
	s_xor_b32 exec_lo, exec_lo, s22
	s_cbranch_execz .LBB2_249
.LBB2_433:                              ;   in Loop: Header=BB2_130 Depth=3
	v_cmp_ne_u16_e32 vcc_lo, 0, v97
	v_mov_b32_e32 v19, 0
	s_and_not1_b32 s10, s10, exec_lo
	s_and_b32 s21, vcc_lo, exec_lo
	s_delay_alu instid0(SALU_CYCLE_1)
	s_or_b32 s10, s10, s21
	s_or_b32 exec_lo, exec_lo, s22
	s_and_saveexec_b32 s21, s10
	s_cbranch_execnz .LBB2_250
	s_branch .LBB2_251
.LBB2_434:                              ;   in Loop: Header=BB2_130 Depth=3
	s_mov_b32 s10, -1
	s_mov_b32 s23, exec_lo
                                        ; implicit-def: $sgpr21
	v_cmpx_eq_u16_e32 0x80, v20
; %bb.435:                              ;   in Loop: Header=BB2_130 Depth=3
	s_mov_b32 s21, 0x7f800001
	s_xor_b32 s10, exec_lo, -1
; %bb.436:                              ;   in Loop: Header=BB2_130 Depth=3
	s_or_b32 exec_lo, exec_lo, s23
	s_delay_alu instid0(SALU_CYCLE_1)
	s_and_b32 s10, s10, exec_lo
                                        ; implicit-def: $vgpr20
	s_or_saveexec_b32 s22, s22
	v_mov_b32_e32 v19, s21
	s_xor_b32 exec_lo, exec_lo, s22
	s_cbranch_execz .LBB2_263
.LBB2_437:                              ;   in Loop: Header=BB2_130 Depth=3
	v_cmp_ne_u16_e32 vcc_lo, 0, v20
	v_mov_b32_e32 v19, 0
	s_and_not1_b32 s10, s10, exec_lo
	s_and_b32 s21, vcc_lo, exec_lo
	s_delay_alu instid0(SALU_CYCLE_1)
	s_or_b32 s10, s10, s21
	s_or_b32 exec_lo, exec_lo, s22
	s_and_saveexec_b32 s21, s10
	s_cbranch_execnz .LBB2_264
	s_branch .LBB2_265
.LBB2_438:                              ;   in Loop: Header=BB2_130 Depth=3
	s_mov_b32 s10, -1
	s_mov_b32 s23, exec_lo
                                        ; implicit-def: $sgpr21
	v_cmpx_eq_u16_e64 0x80, v150
; %bb.439:                              ;   in Loop: Header=BB2_130 Depth=3
	s_mov_b32 s21, 0x7f800001
	s_xor_b32 s10, exec_lo, -1
; %bb.440:                              ;   in Loop: Header=BB2_130 Depth=3
	s_or_b32 exec_lo, exec_lo, s23
	s_delay_alu instid0(SALU_CYCLE_1)
	s_and_b32 s10, s10, exec_lo
                                        ; implicit-def: $vgpr150
	s_or_saveexec_b32 s22, s22
	v_mov_b32_e32 v20, s21
	s_xor_b32 exec_lo, exec_lo, s22
	s_cbranch_execz .LBB2_267
.LBB2_441:                              ;   in Loop: Header=BB2_130 Depth=3
	v_cmp_ne_u16_e64 vcc_lo, 0, v150
	v_mov_b32_e32 v20, 0
	s_and_not1_b32 s10, s10, exec_lo
	s_delay_alu instid0(VALU_DEP_2) | instskip(NEXT) | instid1(SALU_CYCLE_1)
	s_and_b32 s21, vcc_lo, exec_lo
	s_or_b32 s10, s10, s21
	s_or_b32 exec_lo, exec_lo, s22
	s_and_saveexec_b32 s21, s10
	s_cbranch_execnz .LBB2_268
	s_branch .LBB2_269
.LBB2_442:                              ;   in Loop: Header=BB2_130 Depth=3
	s_mov_b32 s10, -1
	s_mov_b32 s23, exec_lo
                                        ; implicit-def: $sgpr21
	v_cmpx_eq_u16_e32 0x80, v20
; %bb.443:                              ;   in Loop: Header=BB2_130 Depth=3
	s_mov_b32 s21, 0x7f800001
	s_xor_b32 s10, exec_lo, -1
; %bb.444:                              ;   in Loop: Header=BB2_130 Depth=3
	s_or_b32 exec_lo, exec_lo, s23
	s_delay_alu instid0(SALU_CYCLE_1)
	s_and_b32 s10, s10, exec_lo
                                        ; implicit-def: $vgpr20
	s_or_saveexec_b32 s22, s22
	v_mov_b32_e32 v19, s21
	s_xor_b32 exec_lo, exec_lo, s22
	s_cbranch_execz .LBB2_273
.LBB2_445:                              ;   in Loop: Header=BB2_130 Depth=3
	v_cmp_ne_u16_e32 vcc_lo, 0, v20
	v_mov_b32_e32 v19, 0
	s_and_not1_b32 s10, s10, exec_lo
	s_and_b32 s21, vcc_lo, exec_lo
	s_delay_alu instid0(SALU_CYCLE_1)
	s_or_b32 s10, s10, s21
	s_or_b32 exec_lo, exec_lo, s22
	s_and_saveexec_b32 s21, s10
	s_cbranch_execnz .LBB2_274
	s_branch .LBB2_275
.LBB2_446:                              ;   in Loop: Header=BB2_130 Depth=3
	s_mov_b32 s10, -1
	s_mov_b32 s23, exec_lo
                                        ; implicit-def: $sgpr21
	v_cmpx_eq_u16_e64 0x80, v150
; %bb.447:                              ;   in Loop: Header=BB2_130 Depth=3
	s_mov_b32 s21, 0x7f800001
	s_xor_b32 s10, exec_lo, -1
; %bb.448:                              ;   in Loop: Header=BB2_130 Depth=3
	s_or_b32 exec_lo, exec_lo, s23
	s_delay_alu instid0(SALU_CYCLE_1)
	s_and_b32 s10, s10, exec_lo
                                        ; implicit-def: $vgpr150
	s_or_saveexec_b32 s22, s22
	v_mov_b32_e32 v20, s21
	s_xor_b32 exec_lo, exec_lo, s22
	s_cbranch_execz .LBB2_277
.LBB2_449:                              ;   in Loop: Header=BB2_130 Depth=3
	v_cmp_ne_u16_e64 vcc_lo, 0, v150
	v_mov_b32_e32 v20, 0
	s_and_not1_b32 s10, s10, exec_lo
	s_delay_alu instid0(VALU_DEP_2) | instskip(NEXT) | instid1(SALU_CYCLE_1)
	s_and_b32 s21, vcc_lo, exec_lo
	s_or_b32 s10, s10, s21
	s_or_b32 exec_lo, exec_lo, s22
	s_and_saveexec_b32 s21, s10
	s_cbranch_execnz .LBB2_278
	s_branch .LBB2_279
.LBB2_450:                              ;   in Loop: Header=BB2_130 Depth=3
	s_mov_b32 s10, -1
	s_mov_b32 s23, exec_lo
                                        ; implicit-def: $sgpr21
	v_cmpx_eq_u16_e64 0x80, v160
; %bb.451:                              ;   in Loop: Header=BB2_130 Depth=3
	s_mov_b32 s21, 0x7f800001
	s_xor_b32 s10, exec_lo, -1
; %bb.452:                              ;   in Loop: Header=BB2_130 Depth=3
	s_or_b32 exec_lo, exec_lo, s23
	s_delay_alu instid0(SALU_CYCLE_1)
	s_and_b32 s10, s10, exec_lo
	s_or_saveexec_b32 s22, s22
	v_mov_b32_e32 v20, s21
	s_xor_b32 exec_lo, exec_lo, s22
	s_cbranch_execz .LBB2_291
.LBB2_453:                              ;   in Loop: Header=BB2_130 Depth=3
	v_cmp_ne_u16_e64 vcc_lo, 0, v160
	v_mov_b32_e32 v20, 0
	s_and_not1_b32 s10, s10, exec_lo
	s_delay_alu instid0(VALU_DEP_2) | instskip(NEXT) | instid1(SALU_CYCLE_1)
	s_and_b32 s21, vcc_lo, exec_lo
	s_or_b32 s10, s10, s21
	s_or_b32 exec_lo, exec_lo, s22
	s_and_saveexec_b32 s21, s10
	s_cbranch_execnz .LBB2_292
	s_branch .LBB2_293
.LBB2_454:                              ;   in Loop: Header=BB2_130 Depth=3
	s_mov_b32 s10, -1
	s_mov_b32 s23, exec_lo
                                        ; implicit-def: $sgpr21
	v_cmpx_eq_u16_e64 0x80, v151
; %bb.455:                              ;   in Loop: Header=BB2_130 Depth=3
	s_mov_b32 s21, 0x7f800001
	s_xor_b32 s10, exec_lo, -1
; %bb.456:                              ;   in Loop: Header=BB2_130 Depth=3
	s_or_b32 exec_lo, exec_lo, s23
	s_delay_alu instid0(SALU_CYCLE_1)
	s_and_b32 s10, s10, exec_lo
	s_or_saveexec_b32 s22, s22
	v_mov_b32_e32 v19, s21
	s_xor_b32 exec_lo, exec_lo, s22
	s_cbranch_execz .LBB2_295
.LBB2_457:                              ;   in Loop: Header=BB2_130 Depth=3
	v_cmp_ne_u16_e64 vcc_lo, 0, v151
	v_mov_b32_e32 v19, 0
	s_and_not1_b32 s10, s10, exec_lo
	s_delay_alu instid0(VALU_DEP_2) | instskip(NEXT) | instid1(SALU_CYCLE_1)
	s_and_b32 s21, vcc_lo, exec_lo
	s_or_b32 s10, s10, s21
	s_or_b32 exec_lo, exec_lo, s22
	s_and_saveexec_b32 s21, s10
	s_cbranch_execnz .LBB2_296
	s_branch .LBB2_297
.LBB2_458:                              ;   in Loop: Header=BB2_130 Depth=3
	s_mov_b32 s10, -1
	s_mov_b32 s23, exec_lo
                                        ; implicit-def: $sgpr21
	v_cmpx_eq_u16_e64 0x80, v160
; %bb.459:                              ;   in Loop: Header=BB2_130 Depth=3
	s_mov_b32 s21, 0x7f800001
	s_xor_b32 s10, exec_lo, -1
; %bb.460:                              ;   in Loop: Header=BB2_130 Depth=3
	s_or_b32 exec_lo, exec_lo, s23
	s_delay_alu instid0(SALU_CYCLE_1)
	s_and_b32 s10, s10, exec_lo
	s_or_saveexec_b32 s22, s22
	v_mov_b32_e32 v20, s21
	s_xor_b32 exec_lo, exec_lo, s22
	s_cbranch_execz .LBB2_301
.LBB2_461:                              ;   in Loop: Header=BB2_130 Depth=3
	v_cmp_ne_u16_e64 vcc_lo, 0, v160
	v_mov_b32_e32 v20, 0
	s_and_not1_b32 s10, s10, exec_lo
	s_delay_alu instid0(VALU_DEP_2) | instskip(NEXT) | instid1(SALU_CYCLE_1)
	s_and_b32 s21, vcc_lo, exec_lo
	s_or_b32 s10, s10, s21
	s_or_b32 exec_lo, exec_lo, s22
	s_and_saveexec_b32 s21, s10
	s_cbranch_execnz .LBB2_302
	s_branch .LBB2_303
.LBB2_462:                              ;   in Loop: Header=BB2_130 Depth=3
	s_mov_b32 s10, -1
	s_mov_b32 s23, exec_lo
                                        ; implicit-def: $sgpr21
	v_cmpx_eq_u16_e64 0x80, v151
; %bb.463:                              ;   in Loop: Header=BB2_130 Depth=3
	s_mov_b32 s21, 0x7f800001
	s_xor_b32 s10, exec_lo, -1
; %bb.464:                              ;   in Loop: Header=BB2_130 Depth=3
	s_or_b32 exec_lo, exec_lo, s23
	s_delay_alu instid0(SALU_CYCLE_1)
	s_and_b32 s10, s10, exec_lo
	s_or_saveexec_b32 s22, s22
	v_mov_b32_e32 v19, s21
	s_xor_b32 exec_lo, exec_lo, s22
	s_cbranch_execz .LBB2_305
.LBB2_465:                              ;   in Loop: Header=BB2_130 Depth=3
	v_cmp_ne_u16_e64 vcc_lo, 0, v151
	v_mov_b32_e32 v19, 0
	s_and_not1_b32 s10, s10, exec_lo
	s_delay_alu instid0(VALU_DEP_2) | instskip(NEXT) | instid1(SALU_CYCLE_1)
	s_and_b32 s21, vcc_lo, exec_lo
	s_or_b32 s10, s10, s21
	s_or_b32 exec_lo, exec_lo, s22
	s_and_saveexec_b32 s21, s10
	s_cbranch_execnz .LBB2_306
	s_branch .LBB2_307
.LBB2_466:                              ;   in Loop: Header=BB2_130 Depth=3
	s_mov_b32 s10, -1
	s_mov_b32 s23, exec_lo
                                        ; implicit-def: $sgpr21
	v_cmpx_eq_u16_e64 0x80, v161
; %bb.467:                              ;   in Loop: Header=BB2_130 Depth=3
	s_mov_b32 s21, 0x7f800001
	s_xor_b32 s10, exec_lo, -1
; %bb.468:                              ;   in Loop: Header=BB2_130 Depth=3
	s_or_b32 exec_lo, exec_lo, s23
	s_delay_alu instid0(SALU_CYCLE_1)
	s_and_b32 s10, s10, exec_lo
                                        ; implicit-def: $vgpr161
	s_or_saveexec_b32 s22, s22
	v_mov_b32_e32 v160, s21
	s_xor_b32 exec_lo, exec_lo, s22
	s_cbranch_execz .LBB2_319
.LBB2_469:                              ;   in Loop: Header=BB2_130 Depth=3
	v_cmp_ne_u16_e64 vcc_lo, 0, v161
	v_mov_b32_e32 v160, 0
	s_and_not1_b32 s10, s10, exec_lo
	s_delay_alu instid0(VALU_DEP_2) | instskip(NEXT) | instid1(SALU_CYCLE_1)
	s_and_b32 s21, vcc_lo, exec_lo
	s_or_b32 s10, s10, s21
	s_or_b32 exec_lo, exec_lo, s22
	s_and_saveexec_b32 s21, s10
	s_cbranch_execnz .LBB2_320
	s_branch .LBB2_321
.LBB2_470:                              ;   in Loop: Header=BB2_130 Depth=3
	s_mov_b32 s10, -1
	s_mov_b32 s23, exec_lo
                                        ; implicit-def: $sgpr21
	v_cmpx_eq_u16_e64 0x80, v161
; %bb.471:                              ;   in Loop: Header=BB2_130 Depth=3
	s_mov_b32 s21, 0x7f800001
	s_xor_b32 s10, exec_lo, -1
; %bb.472:                              ;   in Loop: Header=BB2_130 Depth=3
	s_or_b32 exec_lo, exec_lo, s23
	s_delay_alu instid0(SALU_CYCLE_1)
	s_and_b32 s10, s10, exec_lo
                                        ; implicit-def: $vgpr161
	s_or_saveexec_b32 s22, s22
	v_mov_b32_e32 v151, s21
	s_xor_b32 exec_lo, exec_lo, s22
	s_cbranch_execz .LBB2_323
.LBB2_473:                              ;   in Loop: Header=BB2_130 Depth=3
	v_cmp_ne_u16_e64 vcc_lo, 0, v161
	v_mov_b32_e32 v151, 0
	s_and_not1_b32 s10, s10, exec_lo
	s_delay_alu instid0(VALU_DEP_2) | instskip(NEXT) | instid1(SALU_CYCLE_1)
	s_and_b32 s21, vcc_lo, exec_lo
	s_or_b32 s10, s10, s21
	s_or_b32 exec_lo, exec_lo, s22
	s_and_saveexec_b32 s21, s10
	s_cbranch_execnz .LBB2_324
	s_branch .LBB2_325
.LBB2_474:                              ;   in Loop: Header=BB2_130 Depth=3
	s_mov_b32 s10, -1
	s_mov_b32 s23, exec_lo
                                        ; implicit-def: $sgpr21
	v_cmpx_eq_u16_e64 0x80, v161
; %bb.475:                              ;   in Loop: Header=BB2_130 Depth=3
	s_mov_b32 s21, 0x7f800001
	s_xor_b32 s10, exec_lo, -1
; %bb.476:                              ;   in Loop: Header=BB2_130 Depth=3
	s_or_b32 exec_lo, exec_lo, s23
	s_delay_alu instid0(SALU_CYCLE_1)
	s_and_b32 s10, s10, exec_lo
                                        ; implicit-def: $vgpr161
	s_or_saveexec_b32 s22, s22
	v_mov_b32_e32 v160, s21
	s_xor_b32 exec_lo, exec_lo, s22
	s_cbranch_execz .LBB2_329
.LBB2_477:                              ;   in Loop: Header=BB2_130 Depth=3
	v_cmp_ne_u16_e64 vcc_lo, 0, v161
	v_mov_b32_e32 v160, 0
	s_and_not1_b32 s10, s10, exec_lo
	s_delay_alu instid0(VALU_DEP_2) | instskip(NEXT) | instid1(SALU_CYCLE_1)
	s_and_b32 s21, vcc_lo, exec_lo
	s_or_b32 s10, s10, s21
	s_or_b32 exec_lo, exec_lo, s22
	s_and_saveexec_b32 s21, s10
	s_cbranch_execnz .LBB2_330
	s_branch .LBB2_331
.LBB2_478:                              ;   in Loop: Header=BB2_130 Depth=3
	s_mov_b32 s10, -1
	s_mov_b32 s23, exec_lo
                                        ; implicit-def: $sgpr21
	v_cmpx_eq_u16_e64 0x80, v161
; %bb.479:                              ;   in Loop: Header=BB2_130 Depth=3
	s_mov_b32 s21, 0x7f800001
	s_xor_b32 s10, exec_lo, -1
; %bb.480:                              ;   in Loop: Header=BB2_130 Depth=3
	s_or_b32 exec_lo, exec_lo, s23
	s_delay_alu instid0(SALU_CYCLE_1)
	s_and_b32 s10, s10, exec_lo
                                        ; implicit-def: $vgpr161
	s_or_saveexec_b32 s22, s22
	v_mov_b32_e32 v151, s21
	s_xor_b32 exec_lo, exec_lo, s22
	s_cbranch_execz .LBB2_333
.LBB2_481:                              ;   in Loop: Header=BB2_130 Depth=3
	v_cmp_ne_u16_e64 vcc_lo, 0, v161
	v_mov_b32_e32 v151, 0
	s_and_not1_b32 s10, s10, exec_lo
	s_delay_alu instid0(VALU_DEP_2) | instskip(NEXT) | instid1(SALU_CYCLE_1)
	s_and_b32 s21, vcc_lo, exec_lo
	s_or_b32 s10, s10, s21
	s_or_b32 exec_lo, exec_lo, s22
	s_and_saveexec_b32 s21, s10
	s_cbranch_execnz .LBB2_334
	s_branch .LBB2_335
.LBB2_482:                              ;   in Loop: Header=BB2_130 Depth=3
	s_mov_b32 s10, -1
	s_mov_b32 s23, exec_lo
                                        ; implicit-def: $sgpr21
	v_cmpx_eq_u16_e32 0x80, v20
; %bb.483:                              ;   in Loop: Header=BB2_130 Depth=3
	s_mov_b32 s21, 0x7f800001
	s_xor_b32 s10, exec_lo, -1
; %bb.484:                              ;   in Loop: Header=BB2_130 Depth=3
	s_or_b32 exec_lo, exec_lo, s23
	s_delay_alu instid0(SALU_CYCLE_1)
	s_and_b32 s10, s10, exec_lo
	s_or_saveexec_b32 s22, s22
	v_mov_b32_e32 v161, s21
	s_xor_b32 exec_lo, exec_lo, s22
	s_cbranch_execz .LBB2_347
.LBB2_485:                              ;   in Loop: Header=BB2_130 Depth=3
	v_cmp_ne_u16_e32 vcc_lo, 0, v20
	v_mov_b32_e32 v161, 0
	s_and_not1_b32 s10, s10, exec_lo
	s_and_b32 s21, vcc_lo, exec_lo
	s_delay_alu instid0(SALU_CYCLE_1)
	s_or_b32 s10, s10, s21
	s_or_b32 exec_lo, exec_lo, s22
	s_and_saveexec_b32 s21, s10
	s_cbranch_execnz .LBB2_348
	s_branch .LBB2_349
.LBB2_486:                              ;   in Loop: Header=BB2_130 Depth=3
	s_mov_b32 s10, -1
	s_mov_b32 s23, exec_lo
                                        ; implicit-def: $sgpr21
	v_cmpx_eq_u16_e64 0x80, v160
; %bb.487:                              ;   in Loop: Header=BB2_130 Depth=3
	s_mov_b32 s21, 0x7f800001
	s_xor_b32 s10, exec_lo, -1
; %bb.488:                              ;   in Loop: Header=BB2_130 Depth=3
	s_or_b32 exec_lo, exec_lo, s23
	s_delay_alu instid0(SALU_CYCLE_1)
	s_and_b32 s10, s10, exec_lo
	s_or_saveexec_b32 s22, s22
	v_mov_b32_e32 v20, s21
	s_xor_b32 exec_lo, exec_lo, s22
	s_cbranch_execz .LBB2_351
.LBB2_489:                              ;   in Loop: Header=BB2_130 Depth=3
	v_cmp_ne_u16_e64 vcc_lo, 0, v160
	v_mov_b32_e32 v20, 0
	s_and_not1_b32 s10, s10, exec_lo
	s_delay_alu instid0(VALU_DEP_2) | instskip(NEXT) | instid1(SALU_CYCLE_1)
	s_and_b32 s21, vcc_lo, exec_lo
	s_or_b32 s10, s10, s21
	s_or_b32 exec_lo, exec_lo, s22
	s_and_saveexec_b32 s21, s10
	s_cbranch_execnz .LBB2_352
	s_branch .LBB2_353
.LBB2_490:                              ;   in Loop: Header=BB2_130 Depth=3
	s_mov_b32 s10, -1
	s_mov_b32 s23, exec_lo
                                        ; implicit-def: $sgpr21
	v_cmpx_eq_u16_e32 0x80, v20
; %bb.491:                              ;   in Loop: Header=BB2_130 Depth=3
	s_mov_b32 s21, 0x7f800001
	s_xor_b32 s10, exec_lo, -1
; %bb.492:                              ;   in Loop: Header=BB2_130 Depth=3
	s_or_b32 exec_lo, exec_lo, s23
	s_delay_alu instid0(SALU_CYCLE_1)
	s_and_b32 s10, s10, exec_lo
	s_or_saveexec_b32 s22, s22
	v_mov_b32_e32 v161, s21
	s_xor_b32 exec_lo, exec_lo, s22
	s_cbranch_execz .LBB2_357
.LBB2_493:                              ;   in Loop: Header=BB2_130 Depth=3
	v_cmp_ne_u16_e32 vcc_lo, 0, v20
	v_mov_b32_e32 v161, 0
	s_and_not1_b32 s10, s10, exec_lo
	s_and_b32 s21, vcc_lo, exec_lo
	s_delay_alu instid0(SALU_CYCLE_1)
	s_or_b32 s10, s10, s21
	s_or_b32 exec_lo, exec_lo, s22
	s_and_saveexec_b32 s21, s10
	s_cbranch_execnz .LBB2_358
	s_branch .LBB2_359
.LBB2_494:                              ;   in Loop: Header=BB2_130 Depth=3
	s_mov_b32 s10, -1
	s_mov_b32 s23, exec_lo
                                        ; implicit-def: $sgpr21
	v_cmpx_eq_u16_e64 0x80, v160
; %bb.495:                              ;   in Loop: Header=BB2_130 Depth=3
	s_mov_b32 s21, 0x7f800001
	s_xor_b32 s10, exec_lo, -1
; %bb.496:                              ;   in Loop: Header=BB2_130 Depth=3
	s_or_b32 exec_lo, exec_lo, s23
	s_delay_alu instid0(SALU_CYCLE_1)
	s_and_b32 s10, s10, exec_lo
	s_or_saveexec_b32 s22, s22
	v_mov_b32_e32 v20, s21
	s_xor_b32 exec_lo, exec_lo, s22
	s_cbranch_execz .LBB2_361
.LBB2_497:                              ;   in Loop: Header=BB2_130 Depth=3
	v_cmp_ne_u16_e64 vcc_lo, 0, v160
	v_mov_b32_e32 v20, 0
	s_and_not1_b32 s10, s10, exec_lo
	s_delay_alu instid0(VALU_DEP_2) | instskip(NEXT) | instid1(SALU_CYCLE_1)
	s_and_b32 s21, vcc_lo, exec_lo
	s_or_b32 s10, s10, s21
	s_or_b32 exec_lo, exec_lo, s22
	s_and_saveexec_b32 s21, s10
	s_cbranch_execnz .LBB2_362
	s_branch .LBB2_363
.LBB2_498:                              ;   in Loop: Header=BB2_85 Depth=2
	s_or_b32 exec_lo, exec_lo, s20
.LBB2_499:                              ;   in Loop: Header=BB2_85 Depth=2
	s_delay_alu instid0(SALU_CYCLE_1)
	s_or_b32 exec_lo, exec_lo, s19
	s_and_saveexec_b32 s9, s3
	s_cbranch_execz .LBB2_521
; %bb.500:                              ;   in Loop: Header=BB2_85 Depth=2
	s_and_saveexec_b32 s10, s4
	s_delay_alu instid0(SALU_CYCLE_1)
	s_xor_b32 s10, exec_lo, s10
	s_cbranch_execz .LBB2_518
; %bb.501:                              ;   in Loop: Header=BB2_85 Depth=2
	s_and_saveexec_b32 s19, s5
	s_cbranch_execz .LBB2_517
; %bb.502:                              ;   in Loop: Header=BB2_85 Depth=2
	s_mov_b32 s21, exec_lo
	s_mov_b32 s20, exec_lo
	v_mbcnt_lo_u32_b32 v17, s21, 0
	s_waitcnt vmcnt(0) lgkmcnt(0)
	s_waitcnt_vscnt null, 0x0
	buffer_gl1_inv
	buffer_gl0_inv
	v_cmpx_eq_u32_e32 0, v17
	s_cbranch_execz .LBB2_504
; %bb.503:                              ;   in Loop: Header=BB2_85 Depth=2
	s_bcnt1_i32_b32 s21, s21
	s_delay_alu instid0(SALU_CYCLE_1)
	v_mov_b32_e32 v54, s21
	ds_add_u64 v0, v[54:55]
	s_cbranch_execnz .LBB2_1002
.LBB2_504:                              ;   in Loop: Header=BB2_85 Depth=2
	s_or_b32 exec_lo, exec_lo, s20
	s_cbranch_execnz .LBB2_994
; %bb.505:                              ;   in Loop: Header=BB2_85 Depth=2
	ds_load_b64 v[17:18], v0
	v_add_co_u32 v2, vcc_lo, v2, v100
	v_add_co_ci_u32_e32 v3, vcc_lo, v3, v103, vcc_lo
	s_mov_b32 s20, exec_lo
	s_waitcnt lgkmcnt(0)
	s_delay_alu instid0(VALU_DEP_1)
	v_cmpx_lt_u64_e64 v[17:18], v[2:3]
	s_cbranch_execz .LBB2_516
; %bb.506:                              ;   in Loop: Header=BB2_85 Depth=2
	s_mov_b32 s21, 0
	s_mov_b32 s24, 0
                                        ; implicit-def: $sgpr22
                                        ; implicit-def: $sgpr23
	s_branch .LBB2_508
.LBB2_507:                              ;   in Loop: Header=BB2_508 Depth=3
	s_or_b32 exec_lo, exec_lo, s27
	s_delay_alu instid0(SALU_CYCLE_1) | instskip(NEXT) | instid1(SALU_CYCLE_1)
	s_and_b32 s25, exec_lo, s26
	s_or_b32 s21, s25, s21
	s_and_not1_b32 s22, s22, exec_lo
	s_and_b32 s25, s23, exec_lo
	s_delay_alu instid0(SALU_CYCLE_1)
	s_or_b32 s22, s22, s25
	s_and_not1_b32 exec_lo, exec_lo, s21
	s_cbranch_execz .LBB2_514
.LBB2_508:                              ;   Parent Loop BB2_32 Depth=1
                                        ;     Parent Loop BB2_85 Depth=2
                                        ; =>    This Inner Loop Header: Depth=3
	s_add_i32 s24, s24, 1
                                        ; implicit-def: $sgpr26
	s_delay_alu instid0(SALU_CYCLE_1) | instskip(SKIP_1) | instid1(SALU_CYCLE_1)
	s_cmpk_lg_i32 s24, 0x2710
	s_cselect_b32 s25, -1, 0
	s_and_b32 vcc_lo, exec_lo, s25
	s_cbranch_vccz .LBB2_512
.LBB2_509:                              ;   in Loop: Header=BB2_508 Depth=3
	s_and_not1_b32 s23, s23, exec_lo
	s_and_b32 s27, s26, exec_lo
	s_mov_b32 s26, -1
	s_or_b32 s23, s23, s27
	s_and_saveexec_b32 s27, s25
	s_cbranch_execz .LBB2_507
; %bb.510:                              ;   in Loop: Header=BB2_508 Depth=3
	s_sleep 1
	s_cbranch_execnz .LBB2_1014
; %bb.511:                              ;   in Loop: Header=BB2_508 Depth=3
	ds_load_b64 v[17:18], v0
	s_and_not1_b32 s23, s23, exec_lo
	s_waitcnt lgkmcnt(0)
	v_cmp_ge_u64_e32 vcc_lo, v[17:18], v[2:3]
	s_or_not1_b32 s26, vcc_lo, exec_lo
	s_branch .LBB2_507
.LBB2_512:                              ;   in Loop: Header=BB2_508 Depth=3
	s_cbranch_execnz .LBB2_1016
; %bb.513:                              ;   in Loop: Header=BB2_508 Depth=3
	ds_load_b64 v[17:18], v0
	s_and_not1_b32 s25, s25, exec_lo
	s_mov_b32 s24, 0
	s_mov_b32 s26, -1
	s_waitcnt lgkmcnt(0)
	flat_load_b32 v17, v[17:18] glc
	s_waitcnt vmcnt(0) lgkmcnt(0)
	buffer_gl1_inv
	buffer_gl0_inv
	v_cmp_eq_u32_e32 vcc_lo, 0, v17
	s_and_b32 s27, vcc_lo, exec_lo
	s_delay_alu instid0(SALU_CYCLE_1)
	s_or_b32 s25, s25, s27
	s_branch .LBB2_509
.LBB2_514:                              ;   in Loop: Header=BB2_85 Depth=2
	s_or_b32 exec_lo, exec_lo, s21
	s_and_saveexec_b32 s21, s22
	s_delay_alu instid0(SALU_CYCLE_1)
	s_xor_b32 s21, exec_lo, s21
	s_cbranch_execz .LBB2_516
; %bb.515:                              ;   in Loop: Header=BB2_85 Depth=2
	ds_store_b32 v0, v129
	s_cbranch_execnz .LBB2_1035
.LBB2_516:                              ;   in Loop: Header=BB2_85 Depth=2
	s_or_b32 exec_lo, exec_lo, s20
	;;#ASMSTART
	s_wakeup
	;;#ASMEND
.LBB2_517:                              ;   in Loop: Header=BB2_85 Depth=2
	s_or_b32 exec_lo, exec_lo, s19
.LBB2_518:                              ;   in Loop: Header=BB2_85 Depth=2
	s_and_not1_saveexec_b32 s10, s10
	s_cbranch_execz .LBB2_520
; %bb.519:                              ;   in Loop: Header=BB2_85 Depth=2
	s_waitcnt vmcnt(0) lgkmcnt(0)
	s_waitcnt_vscnt null, 0x0
	buffer_gl1_inv
	buffer_gl0_inv
	s_barrier
.LBB2_520:                              ;   in Loop: Header=BB2_85 Depth=2
	s_or_b32 exec_lo, exec_lo, s10
.LBB2_521:                              ;   in Loop: Header=BB2_85 Depth=2
	s_delay_alu instid0(SALU_CYCLE_1)
	s_or_b32 exec_lo, exec_lo, s9
	s_and_saveexec_b32 s9, s7
	s_cbranch_execz .LBB2_523
; %bb.522:                              ;   in Loop: Header=BB2_85 Depth=2
	v_add_co_u32 v48, vcc_lo, v48, 1
	v_add_co_ci_u32_e32 v49, vcc_lo, 0, v49, vcc_lo
	s_waitcnt vmcnt(0) lgkmcnt(0)
	s_waitcnt_vscnt null, 0x0
	flat_store_b64 v[36:37], v[48:49]
.LBB2_523:                              ;   in Loop: Header=BB2_85 Depth=2
	s_or_b32 exec_lo, exec_lo, s9
	v_and_b32_e32 v54, 0x7ffffff8, v70
	v_cmp_gt_i32_e64 s9, s13, v82
	s_delay_alu instid0(VALU_DEP_2) | instskip(NEXT) | instid1(VALU_DEP_2)
	v_cmp_eq_u64_e32 vcc_lo, 0x7ffffff8, v[54:55]
	s_and_b32 s9, vcc_lo, s9
	s_delay_alu instid0(SALU_CYCLE_1)
	s_and_saveexec_b32 s10, s9
	s_cbranch_execz .LBB2_526
; %bb.524:                              ;   in Loop: Header=BB2_85 Depth=2
	v_and_b32_e32 v17, 7, v135
	v_ashrrev_i32_e32 v83, 31, v82
	v_mov_b32_e32 v21, v70
	s_mov_b32 s19, 0
	s_delay_alu instid0(VALU_DEP_3) | instskip(SKIP_2) | instid1(VALU_DEP_2)
	v_mul_lo_u32 v17, s13, v17
	s_waitcnt vmcnt(0) lgkmcnt(0)
	v_lshlrev_b64 v[19:20], 4, v[82:83]
	v_ashrrev_i32_e32 v18, 31, v17
	s_delay_alu instid0(VALU_DEP_1) | instskip(NEXT) | instid1(VALU_DEP_1)
	v_lshlrev_b64 v[17:18], 4, v[17:18]
	v_add_co_u32 v19, vcc_lo, v19, v17
	s_delay_alu instid0(VALU_DEP_2) | instskip(SKIP_2) | instid1(VALU_DEP_4)
	v_add_co_ci_u32_e32 v20, vcc_lo, v20, v18, vcc_lo
	v_add_co_u32 v17, vcc_lo, 0, 0
	v_add_co_ci_u32_e32 v18, vcc_lo, 1, v21, vcc_lo
	v_add_co_u32 v21, vcc_lo, v38, v19
	s_delay_alu instid0(VALU_DEP_4)
	v_add_co_ci_u32_e32 v22, vcc_lo, v39, v20, vcc_lo
.LBB2_525:                              ;   Parent Loop BB2_32 Depth=1
                                        ;     Parent Loop BB2_85 Depth=2
                                        ; =>    This Inner Loop Header: Depth=3
	s_delay_alu instid0(VALU_DEP_4) | instskip(NEXT) | instid1(VALU_DEP_4)
	v_dual_mov_b32 v19, v17 :: v_dual_add_nc_u32 v82, v82, v1
	v_mov_b32_e32 v20, v18
	s_delay_alu instid0(VALU_DEP_2) | instskip(SKIP_2) | instid1(VALU_DEP_1)
	v_cmp_le_i32_e32 vcc_lo, s13, v82
	global_store_b128 v[21:22], v[17:20], off
	v_add_co_u32 v21, s9, v21, v68
	v_add_co_ci_u32_e64 v22, s9, v22, v69, s9
	s_or_b32 s19, vcc_lo, s19
	s_delay_alu instid0(SALU_CYCLE_1)
	s_and_not1_b32 exec_lo, exec_lo, s19
	s_cbranch_execnz .LBB2_525
.LBB2_526:                              ;   in Loop: Header=BB2_85 Depth=2
	s_or_b32 exec_lo, exec_lo, s10
	v_add_co_u32 v32, vcc_lo, v32, 1
	v_add_co_ci_u32_e32 v33, vcc_lo, 0, v33, vcc_lo
	v_add_co_u32 v70, vcc_lo, v70, 1
	v_add_co_ci_u32_e32 v71, vcc_lo, 0, v71, vcc_lo
	v_add_nc_u16 v135, v135, 1
	s_add_i32 s18, s18, 1
	s_delay_alu instid0(SALU_CYCLE_1)
	s_cmp_eq_u32 s18, s14
	s_cbranch_scc0 .LBB2_85
.LBB2_527:                              ;   in Loop: Header=BB2_32 Depth=1
	s_delay_alu instid0(VALU_DEP_1)
	v_dual_mov_b32 v21, v70 :: v_dual_mov_b32 v22, v71
	s_and_saveexec_b32 s10, s8
	s_cbranch_execz .LBB2_919
; %bb.528:                              ;   in Loop: Header=BB2_32 Depth=1
	flat_load_b32 v54, v[23:24]
	v_and_b32_e32 v17, 7, v32
	s_waitcnt vmcnt(1) lgkmcnt(1)
	v_add_co_u32 v19, vcc_lo, v11, v133
	v_add_co_ci_u32_e32 v20, vcc_lo, v12, v134, vcc_lo
	s_delay_alu instid0(VALU_DEP_3) | instskip(SKIP_1) | instid1(VALU_DEP_1)
	v_mul_lo_u32 v17, v17, s13
	s_mov_b32 s18, 0
	v_ashrrev_i32_e32 v18, 31, v17
	s_delay_alu instid0(VALU_DEP_1)
	v_lshlrev_b64 v[17:18], 4, v[17:18]
	s_waitcnt vmcnt(0) lgkmcnt(0)
	v_ashrrev_i32_e32 v70, 31, v54
	v_mul_lo_u32 v82, v99, v54
	v_mad_u64_u32 v[80:81], null, v98, v54, v[19:20]
	v_add_nc_u32_e32 v54, 1, v32
	s_delay_alu instid0(VALU_DEP_4)
	v_mul_lo_u32 v19, v98, v70
	v_add_co_u32 v70, vcc_lo, v116, v133
	v_add_co_ci_u32_e32 v71, vcc_lo, v117, v134, vcc_lo
	v_add_co_u32 v83, vcc_lo, v29, v17
	v_add_co_ci_u32_e32 v84, vcc_lo, v30, v18, vcc_lo
	v_add3_u32 v19, v82, v81, v19
	v_add_co_u32 v85, vcc_lo, v80, v101
	v_mov_b32_e32 v80, v4
	s_delay_alu instid0(VALU_DEP_3)
	v_add_co_ci_u32_e32 v86, vcc_lo, v19, v112, vcc_lo
	s_branch .LBB2_530
.LBB2_529:                              ;   in Loop: Header=BB2_530 Depth=2
	v_sub_nc_u32_e32 v131, v131, v102
	v_add_co_u32 v85, vcc_lo, v85, v102
	v_add_co_ci_u32_e32 v86, vcc_lo, v86, v113, vcc_lo
	s_delay_alu instid0(VALU_DEP_3) | instskip(SKIP_1) | instid1(VALU_DEP_1)
	v_cmp_gt_i32_e32 vcc_lo, 1, v131
	v_add_co_u32 v70, s8, v70, v102
	v_add_co_ci_u32_e64 v71, s8, v71, v113, s8
	v_add_nc_u32_e32 v80, v80, v1
	s_or_b32 s18, vcc_lo, s18
	s_delay_alu instid0(SALU_CYCLE_1)
	s_and_not1_b32 exec_lo, exec_lo, s18
	s_cbranch_execz .LBB2_918
.LBB2_530:                              ;   Parent Loop BB2_32 Depth=1
                                        ; =>  This Loop Header: Depth=2
                                        ;       Child Loop BB2_538 Depth 3
	s_delay_alu instid0(VALU_DEP_1)
	v_dual_mov_b32 v18, v86 :: v_dual_and_b32 v17, -4, v85
	v_min_u32_e32 v19, 8, v131
	v_dual_mov_b32 v87, 0 :: v_dual_and_b32 v20, 3, v85
	v_mov_b32_e32 v96, 0
	flat_load_b32 v97, v[17:18] glc
	v_add_co_u32 v19, s8, v20, v19
	s_delay_alu instid0(VALU_DEP_1) | instskip(SKIP_1) | instid1(VALU_DEP_1)
	v_add_co_ci_u32_e64 v20, null, 0, 0, s8
	s_mov_b32 s8, exec_lo
	v_cmpx_lt_u64_e32 4, v[19:20]
	s_cbranch_execz .LBB2_532
; %bb.531:                              ;   in Loop: Header=BB2_530 Depth=2
	flat_load_b32 v96, v[17:18] offset:4 glc
.LBB2_532:                              ;   in Loop: Header=BB2_530 Depth=2
	s_or_b32 exec_lo, exec_lo, s8
	s_delay_alu instid0(SALU_CYCLE_1)
	s_mov_b32 s8, exec_lo
	v_cmpx_lt_u64_e32 8, v[19:20]
	s_cbranch_execz .LBB2_534
; %bb.533:                              ;   in Loop: Header=BB2_530 Depth=2
	flat_load_b32 v87, v[17:18] offset:8 glc
.LBB2_534:                              ;   in Loop: Header=BB2_530 Depth=2
	s_or_b32 exec_lo, exec_lo, s8
	v_ashrrev_i32_e32 v81, 31, v80
	s_delay_alu instid0(VALU_DEP_1) | instskip(NEXT) | instid1(VALU_DEP_1)
	v_lshlrev_b64 v[17:18], 4, v[80:81]
	v_add_co_u32 v81, vcc_lo, v83, v17
	s_delay_alu instid0(VALU_DEP_2)
	v_add_co_ci_u32_e32 v82, vcc_lo, v84, v18, vcc_lo
	v_cmp_eq_u32_e32 vcc_lo, 0, v130
	;;#ASMSTART
	global_load_b128 v[17:20], v[81:82], off glc slc dlc
s_waitcnt vmcnt(0)

	;;#ASMEND
	s_and_saveexec_b32 s19, vcc_lo
	s_cbranch_execz .LBB2_548
; %bb.535:                              ;   in Loop: Header=BB2_530 Depth=2
	v_cmp_ne_u32_e64 s8, v54, v18
	v_cmp_ne_u32_e64 s9, v54, v20
	v_mov_b32_e32 v130, 0
	s_delay_alu instid0(VALU_DEP_2) | instskip(NEXT) | instid1(SALU_CYCLE_1)
	s_or_b32 s8, s8, s9
	s_and_saveexec_b32 s9, s8
	s_cbranch_execz .LBB2_547
; %bb.536:                              ;   in Loop: Header=BB2_530 Depth=2
	v_cndmask_b32_e64 v132, 0, 1, vcc_lo
	s_mov_b32 s20, 0
                                        ; implicit-def: $sgpr21
                                        ; implicit-def: $sgpr22
	s_branch .LBB2_538
.LBB2_537:                              ;   in Loop: Header=BB2_538 Depth=3
	s_or_b32 exec_lo, exec_lo, s23
	s_delay_alu instid0(SALU_CYCLE_1) | instskip(NEXT) | instid1(SALU_CYCLE_1)
	s_and_b32 s8, exec_lo, s8
	s_or_b32 s20, s8, s20
	s_and_not1_b32 s8, s21, exec_lo
	s_and_b32 s21, s22, exec_lo
	s_delay_alu instid0(SALU_CYCLE_1)
	s_or_b32 s21, s8, s21
	s_and_not1_b32 exec_lo, exec_lo, s20
	s_cbranch_execz .LBB2_546
.LBB2_538:                              ;   Parent Loop BB2_32 Depth=1
                                        ;     Parent Loop BB2_530 Depth=2
                                        ; =>    This Inner Loop Header: Depth=3
	s_delay_alu instid0(VALU_DEP_1)
	v_add_nc_u32_e32 v132, 1, v132
	v_mov_b32_e32 v130, 0
	s_mov_b32 s8, -1
	s_mov_b32 s24, -1
	s_mov_b32 s23, exec_lo
	;;#ASMSTART
	global_load_b128 v[17:20], v[81:82], off glc slc dlc
s_waitcnt vmcnt(0)

	;;#ASMEND
	v_cmpx_eq_u32_e32 0x2710, v132
	s_cbranch_execz .LBB2_544
; %bb.539:                              ;   in Loop: Header=BB2_538 Depth=3
	s_cbranch_execnz .LBB2_961
; %bb.540:                              ;   in Loop: Header=BB2_538 Depth=3
	ds_load_b64 v[132:133], v0
	v_mov_b32_e32 v130, 0
	s_mov_b32 s25, -1
	s_mov_b32 s24, exec_lo
	s_waitcnt vmcnt(0) lgkmcnt(0)
	s_waitcnt_vscnt null, 0x0
	flat_load_b32 v133, v[132:133] glc
	s_waitcnt vmcnt(0) lgkmcnt(0)
	buffer_gl1_inv
	buffer_gl0_inv
	v_mov_b32_e32 v132, 0
	v_cmpx_ne_u32_e32 0, v133
	s_cbranch_execz .LBB2_543
; %bb.541:                              ;   in Loop: Header=BB2_538 Depth=3
	ds_store_b32 v0, v133
	s_cbranch_execnz .LBB2_973
; %bb.542:                              ;   in Loop: Header=BB2_538 Depth=3
	v_mov_b32_e32 v130, 1
	s_xor_b32 s25, exec_lo, -1
.LBB2_543:                              ;   in Loop: Header=BB2_538 Depth=3
	s_or_b32 exec_lo, exec_lo, s24
	s_delay_alu instid0(SALU_CYCLE_1)
	s_or_not1_b32 s24, s25, exec_lo
.LBB2_544:                              ;   in Loop: Header=BB2_538 Depth=3
	s_or_b32 exec_lo, exec_lo, s23
	s_delay_alu instid0(SALU_CYCLE_1)
	s_or_b32 s22, s22, exec_lo
	s_and_saveexec_b32 s23, s24
	s_cbranch_execz .LBB2_537
; %bb.545:                              ;   in Loop: Header=BB2_538 Depth=3
	v_cmp_eq_u32_e32 vcc_lo, v54, v18
	v_cmp_eq_u32_e64 s8, v54, v20
	s_and_not1_b32 s22, s22, exec_lo
	s_delay_alu instid0(VALU_DEP_1) | instskip(NEXT) | instid1(SALU_CYCLE_1)
	s_and_b32 s8, vcc_lo, s8
	s_or_not1_b32 s8, s8, exec_lo
	s_branch .LBB2_537
.LBB2_546:                              ;   in Loop: Header=BB2_530 Depth=2
	s_or_b32 exec_lo, exec_lo, s20
	s_xor_b32 s8, s21, -1
	s_delay_alu instid0(SALU_CYCLE_1) | instskip(NEXT) | instid1(SALU_CYCLE_1)
	s_and_saveexec_b32 s20, s8
	s_xor_b32 s8, exec_lo, s20
	s_delay_alu instid0(SALU_CYCLE_1) | instskip(NEXT) | instid1(SALU_CYCLE_1)
	s_and_not1_saveexec_b32 s8, s8
	s_or_b32 exec_lo, exec_lo, s8
.LBB2_547:                              ;   in Loop: Header=BB2_530 Depth=2
	s_delay_alu instid0(SALU_CYCLE_1)
	s_or_b32 exec_lo, exec_lo, s9
.LBB2_548:                              ;   in Loop: Header=BB2_530 Depth=2
	s_delay_alu instid0(SALU_CYCLE_1) | instskip(SKIP_2) | instid1(VALU_DEP_1)
	s_or_b32 exec_lo, exec_lo, s19
	v_lshlrev_b32_e32 v18, 3, v85
                                        ; implicit-def: $vgpr81
	s_waitcnt vmcnt(0) lgkmcnt(0)
	v_alignbit_b32 v97, v96, v97, v18
	s_and_saveexec_b32 s8, s6
	s_delay_alu instid0(SALU_CYCLE_1)
	s_xor_b32 s8, exec_lo, s8
	s_cbranch_execz .LBB2_558
; %bb.549:                              ;   in Loop: Header=BB2_530 Depth=2
	v_and_b32_e32 v81, 0xff, v17
	s_mov_b32 s9, 0
	s_mov_b32 s20, exec_lo
                                        ; implicit-def: $sgpr19
	s_delay_alu instid0(VALU_DEP_1)
	v_cmpx_lt_i16_e32 0x7f, v81
	s_xor_b32 s20, exec_lo, s20
	s_cbranch_execnz .LBB2_790
; %bb.550:                              ;   in Loop: Header=BB2_530 Depth=2
	s_or_saveexec_b32 s20, s20
	v_mov_b32_e32 v20, s19
	s_xor_b32 exec_lo, exec_lo, s20
	s_cbranch_execnz .LBB2_793
.LBB2_551:                              ;   in Loop: Header=BB2_530 Depth=2
	s_or_b32 exec_lo, exec_lo, s20
	s_and_saveexec_b32 s19, s9
	s_cbranch_execz .LBB2_553
.LBB2_552:                              ;   in Loop: Header=BB2_530 Depth=2
	v_and_b32_e32 v20, 3, v17
	v_bfe_u32 v132, v17, 2, 5
	s_delay_alu instid0(VALU_DEP_2) | instskip(NEXT) | instid1(VALU_DEP_2)
	v_clz_i32_u32_e32 v81, v20
	v_cmp_eq_u32_e32 vcc_lo, 0, v132
	s_delay_alu instid0(VALU_DEP_2) | instskip(NEXT) | instid1(VALU_DEP_1)
	v_min_u32_e32 v81, 32, v81
	v_subrev_nc_u32_e32 v82, 29, v81
	v_sub_nc_u32_e32 v81, 30, v81
	s_delay_alu instid0(VALU_DEP_2) | instskip(NEXT) | instid1(VALU_DEP_1)
	v_lshlrev_b32_e32 v82, v82, v17
	v_dual_cndmask_b32 v81, v132, v81 :: v_dual_and_b32 v82, 3, v82
	v_lshlrev_b32_e32 v133, 24, v17
	s_delay_alu instid0(VALU_DEP_2) | instskip(NEXT) | instid1(VALU_DEP_3)
	v_lshl_add_u32 v81, v81, 23, 0x37800000
	v_cndmask_b32_e32 v20, v20, v82, vcc_lo
	s_delay_alu instid0(VALU_DEP_3) | instskip(NEXT) | instid1(VALU_DEP_2)
	v_and_b32_e32 v82, 0x80000000, v133
	v_lshlrev_b32_e32 v20, 21, v20
	s_delay_alu instid0(VALU_DEP_1)
	v_or3_b32 v20, v82, v81, v20
.LBB2_553:                              ;   in Loop: Header=BB2_530 Depth=2
	s_or_b32 exec_lo, exec_lo, s19
	v_and_b32_e32 v82, 0xff, v97
	s_mov_b32 s9, 0
	s_mov_b32 s20, exec_lo
                                        ; implicit-def: $sgpr19
	s_delay_alu instid0(VALU_DEP_1)
	v_cmpx_lt_i16_e32 0x7f, v82
	s_xor_b32 s20, exec_lo, s20
	s_cbranch_execnz .LBB2_794
; %bb.554:                              ;   in Loop: Header=BB2_530 Depth=2
	s_or_saveexec_b32 s20, s20
	v_mov_b32_e32 v81, s19
	s_xor_b32 exec_lo, exec_lo, s20
	s_cbranch_execnz .LBB2_797
.LBB2_555:                              ;   in Loop: Header=BB2_530 Depth=2
	s_or_b32 exec_lo, exec_lo, s20
	s_and_saveexec_b32 s19, s9
	s_cbranch_execz .LBB2_557
.LBB2_556:                              ;   in Loop: Header=BB2_530 Depth=2
	v_bfe_u32 v133, v97, 2, 5
	s_delay_alu instid0(VALU_DEP_1) | instskip(SKIP_1) | instid1(VALU_DEP_1)
	v_cmp_eq_u32_e32 vcc_lo, 0, v133
	v_and_b32_e32 v81, 3, v97
	v_clz_i32_u32_e32 v82, v81
	s_delay_alu instid0(VALU_DEP_1) | instskip(NEXT) | instid1(VALU_DEP_1)
	v_min_u32_e32 v82, 32, v82
	v_subrev_nc_u32_e32 v132, 29, v82
	v_sub_nc_u32_e32 v82, 30, v82
	s_delay_alu instid0(VALU_DEP_2) | instskip(NEXT) | instid1(VALU_DEP_2)
	v_lshlrev_b32_e32 v132, v132, v97
	v_cndmask_b32_e32 v82, v133, v82, vcc_lo
	s_delay_alu instid0(VALU_DEP_2) | instskip(SKIP_1) | instid1(VALU_DEP_3)
	v_and_b32_e32 v132, 3, v132
	v_lshlrev_b32_e32 v134, 24, v97
	v_lshl_add_u32 v82, v82, 23, 0x37800000
	s_delay_alu instid0(VALU_DEP_2) | instskip(NEXT) | instid1(VALU_DEP_1)
	v_dual_cndmask_b32 v81, v81, v132 :: v_dual_and_b32 v132, 0x80000000, v134
	v_lshlrev_b32_e32 v81, 21, v81
	s_delay_alu instid0(VALU_DEP_1)
	v_or3_b32 v81, v132, v82, v81
.LBB2_557:                              ;   in Loop: Header=BB2_530 Depth=2
	s_or_b32 exec_lo, exec_lo, s19
	s_delay_alu instid0(VALU_DEP_1) | instskip(NEXT) | instid1(VALU_DEP_1)
	v_dual_max_f32 v81, v81, v81 :: v_dual_max_f32 v20, v20, v20
	v_max_f32_e32 v81, v20, v81
.LBB2_558:                              ;   in Loop: Header=BB2_530 Depth=2
	s_and_not1_saveexec_b32 s8, s8
	s_cbranch_execz .LBB2_568
; %bb.559:                              ;   in Loop: Header=BB2_530 Depth=2
	v_and_b32_e32 v81, 0xff, v17
	s_mov_b32 s9, 0
	s_mov_b32 s20, exec_lo
                                        ; implicit-def: $sgpr19
	s_delay_alu instid0(VALU_DEP_1)
	v_cmpx_lt_i16_e32 0x7f, v81
	s_xor_b32 s20, exec_lo, s20
	s_cbranch_execnz .LBB2_798
; %bb.560:                              ;   in Loop: Header=BB2_530 Depth=2
	s_or_saveexec_b32 s20, s20
	v_mov_b32_e32 v20, s19
	s_xor_b32 exec_lo, exec_lo, s20
	s_cbranch_execnz .LBB2_801
.LBB2_561:                              ;   in Loop: Header=BB2_530 Depth=2
	s_or_b32 exec_lo, exec_lo, s20
	s_and_saveexec_b32 s19, s9
	s_cbranch_execz .LBB2_563
.LBB2_562:                              ;   in Loop: Header=BB2_530 Depth=2
	v_and_b32_e32 v20, 3, v17
	v_bfe_u32 v132, v17, 2, 5
	s_delay_alu instid0(VALU_DEP_2) | instskip(NEXT) | instid1(VALU_DEP_2)
	v_clz_i32_u32_e32 v81, v20
	v_cmp_eq_u32_e32 vcc_lo, 0, v132
	s_delay_alu instid0(VALU_DEP_2) | instskip(NEXT) | instid1(VALU_DEP_1)
	v_min_u32_e32 v81, 32, v81
	v_subrev_nc_u32_e32 v82, 29, v81
	v_sub_nc_u32_e32 v81, 30, v81
	s_delay_alu instid0(VALU_DEP_2) | instskip(NEXT) | instid1(VALU_DEP_1)
	v_lshlrev_b32_e32 v82, v82, v17
	v_dual_cndmask_b32 v81, v132, v81 :: v_dual_and_b32 v82, 3, v82
	v_lshlrev_b32_e32 v133, 24, v17
	s_delay_alu instid0(VALU_DEP_2) | instskip(NEXT) | instid1(VALU_DEP_3)
	v_lshl_add_u32 v81, v81, 23, 0x37800000
	v_cndmask_b32_e32 v20, v20, v82, vcc_lo
	s_delay_alu instid0(VALU_DEP_3) | instskip(NEXT) | instid1(VALU_DEP_2)
	v_and_b32_e32 v82, 0x80000000, v133
	v_lshlrev_b32_e32 v20, 21, v20
	s_delay_alu instid0(VALU_DEP_1)
	v_or3_b32 v20, v82, v81, v20
.LBB2_563:                              ;   in Loop: Header=BB2_530 Depth=2
	s_or_b32 exec_lo, exec_lo, s19
	v_and_b32_e32 v82, 0xff, v97
	s_mov_b32 s9, 0
	s_mov_b32 s20, exec_lo
                                        ; implicit-def: $sgpr19
	s_delay_alu instid0(VALU_DEP_1)
	v_cmpx_lt_i16_e32 0x7f, v82
	s_xor_b32 s20, exec_lo, s20
	s_cbranch_execnz .LBB2_802
; %bb.564:                              ;   in Loop: Header=BB2_530 Depth=2
	s_or_saveexec_b32 s20, s20
	v_mov_b32_e32 v81, s19
	s_xor_b32 exec_lo, exec_lo, s20
	s_cbranch_execnz .LBB2_805
.LBB2_565:                              ;   in Loop: Header=BB2_530 Depth=2
	s_or_b32 exec_lo, exec_lo, s20
	s_and_saveexec_b32 s19, s9
	s_cbranch_execz .LBB2_567
.LBB2_566:                              ;   in Loop: Header=BB2_530 Depth=2
	v_bfe_u32 v133, v97, 2, 5
	s_delay_alu instid0(VALU_DEP_1) | instskip(SKIP_1) | instid1(VALU_DEP_1)
	v_cmp_eq_u32_e32 vcc_lo, 0, v133
	v_and_b32_e32 v81, 3, v97
	v_clz_i32_u32_e32 v82, v81
	s_delay_alu instid0(VALU_DEP_1) | instskip(NEXT) | instid1(VALU_DEP_1)
	v_min_u32_e32 v82, 32, v82
	v_subrev_nc_u32_e32 v132, 29, v82
	v_sub_nc_u32_e32 v82, 30, v82
	s_delay_alu instid0(VALU_DEP_2) | instskip(NEXT) | instid1(VALU_DEP_2)
	v_lshlrev_b32_e32 v132, v132, v97
	v_cndmask_b32_e32 v82, v133, v82, vcc_lo
	s_delay_alu instid0(VALU_DEP_2) | instskip(SKIP_1) | instid1(VALU_DEP_3)
	v_and_b32_e32 v132, 3, v132
	v_lshlrev_b32_e32 v134, 24, v97
	v_lshl_add_u32 v82, v82, 23, 0x37800000
	s_delay_alu instid0(VALU_DEP_2) | instskip(NEXT) | instid1(VALU_DEP_1)
	v_dual_cndmask_b32 v81, v81, v132 :: v_dual_and_b32 v132, 0x80000000, v134
	v_lshlrev_b32_e32 v81, 21, v81
	s_delay_alu instid0(VALU_DEP_1)
	v_or3_b32 v81, v132, v82, v81
.LBB2_567:                              ;   in Loop: Header=BB2_530 Depth=2
	s_or_b32 exec_lo, exec_lo, s19
	s_delay_alu instid0(VALU_DEP_1) | instskip(NEXT) | instid1(VALU_DEP_1)
	v_dual_max_f32 v81, v81, v81 :: v_dual_max_f32 v20, v20, v20
	v_min_f32_e32 v81, v20, v81
.LBB2_568:                              ;   in Loop: Header=BB2_530 Depth=2
	s_or_b32 exec_lo, exec_lo, s8
	s_delay_alu instid0(VALU_DEP_1) | instskip(NEXT) | instid1(VALU_DEP_1)
	v_and_b32_e32 v20, 0x7f800000, v81
	v_cmp_ne_u32_e32 vcc_lo, 0x7f800000, v20
	v_mov_b32_e32 v20, 0x80
	s_and_saveexec_b32 s9, vcc_lo
	s_cbranch_execz .LBB2_576
; %bb.569:                              ;   in Loop: Header=BB2_530 Depth=2
	v_mov_b32_e32 v20, 0
	s_mov_b32 s19, exec_lo
	v_cmpx_ne_u32_e32 0, v81
	s_cbranch_execz .LBB2_575
; %bb.570:                              ;   in Loop: Header=BB2_530 Depth=2
	v_bfe_u32 v20, v81, 23, 8
	v_and_b32_e32 v82, 0x7fffff, v81
	s_delay_alu instid0(VALU_DEP_2) | instskip(SKIP_1) | instid1(VALU_DEP_3)
	v_sub_nc_u32_e32 v132, 0x70, v20
	v_cmp_gt_u32_e32 vcc_lo, 0x71, v20
	v_or_b32_e32 v133, 0x800000, v82
	s_delay_alu instid0(VALU_DEP_3) | instskip(SKIP_2) | instid1(VALU_DEP_3)
	v_cndmask_b32_e32 v132, 0, v132, vcc_lo
	v_cmp_eq_u32_e32 vcc_lo, 0, v20
	v_add_nc_u32_e32 v20, 0xffffff91, v20
	v_cndmask_b32_e64 v132, v132, 0x6f, vcc_lo
	v_cndmask_b32_e32 v82, v133, v82, vcc_lo
	s_delay_alu instid0(VALU_DEP_3) | instskip(NEXT) | instid1(VALU_DEP_3)
	v_cndmask_b32_e64 v20, v20, 0xffffff92, vcc_lo
	v_lshl_add_u32 v133, 0x200000, v132, -1
	s_delay_alu instid0(VALU_DEP_3) | instskip(SKIP_1) | instid1(VALU_DEP_4)
	v_lshrrev_b32_e32 v134, v132, v82
	v_lshlrev_b32_e64 v144, v132, 0x100000
	v_add_nc_u32_e32 v132, v132, v20
	s_delay_alu instid0(VALU_DEP_4) | instskip(NEXT) | instid1(VALU_DEP_4)
	v_and_b32_e32 v82, v133, v82
	v_bfe_u32 v135, v134, 21, 1
	s_delay_alu instid0(VALU_DEP_2) | instskip(NEXT) | instid1(VALU_DEP_2)
	v_cmp_eq_u32_e64 s8, v82, v144
	v_add_nc_u32_e32 v133, -1, v135
	s_delay_alu instid0(VALU_DEP_1) | instskip(SKIP_2) | instid1(VALU_DEP_2)
	v_cndmask_b32_e64 v82, 0, v133, s8
	v_lshrrev_b32_e32 v133, 23, v134
	s_mov_b32 s8, exec_lo
	v_add_nc_u32_e32 v82, v82, v134
	s_delay_alu instid0(VALU_DEP_2) | instskip(NEXT) | instid1(VALU_DEP_2)
	v_xor_b32_e32 v133, 1, v133
	v_and_b32_e32 v20, 0x1fffff, v82
	s_delay_alu instid0(VALU_DEP_1) | instskip(NEXT) | instid1(VALU_DEP_3)
	v_add_nc_u32_e32 v82, v20, v134
                                        ; implicit-def: $vgpr20
	v_cmpx_ne_u32_e64 v132, v133
	s_xor_b32 s8, exec_lo, s8
; %bb.571:                              ;   in Loop: Header=BB2_530 Depth=2
	s_delay_alu instid0(VALU_DEP_2) | instskip(SKIP_2) | instid1(VALU_DEP_2)
	v_cmp_lt_u32_e32 vcc_lo, 0xffffff, v82
	v_sub_nc_u32_e32 v20, v132, v133
	v_cndmask_b32_e64 v132, 0, 1, vcc_lo
	v_add_co_ci_u32_e32 v20, vcc_lo, 0, v20, vcc_lo
	s_delay_alu instid0(VALU_DEP_2)
	v_lshrrev_b32_e32 v82, v132, v82
; %bb.572:                              ;   in Loop: Header=BB2_530 Depth=2
	s_and_not1_saveexec_b32 s8, s8
; %bb.573:                              ;   in Loop: Header=BB2_530 Depth=2
	s_delay_alu instid0(VALU_DEP_1)
	v_bfe_u32 v20, v82, 23, 1
; %bb.574:                              ;   in Loop: Header=BB2_530 Depth=2
	s_or_b32 exec_lo, exec_lo, s8
	v_lshrrev_b32_e32 v82, 21, v82
	s_delay_alu instid0(VALU_DEP_2) | instskip(SKIP_2) | instid1(VALU_DEP_2)
	v_cmp_gt_i32_e32 vcc_lo, 32, v20
	v_lshrrev_b32_e32 v81, 24, v81
	v_min_i32_e32 v132, 31, v20
	v_dual_cndmask_b32 v82, 3, v82 :: v_dual_and_b32 v81, 0x80, v81
	s_delay_alu instid0(VALU_DEP_2) | instskip(NEXT) | instid1(VALU_DEP_2)
	v_lshlrev_b32_e32 v132, 2, v132
	v_or_b32_e32 v20, v20, v82
	s_delay_alu instid0(VALU_DEP_1) | instskip(SKIP_1) | instid1(VALU_DEP_1)
	v_cmp_ne_u32_e32 vcc_lo, 0, v20
	v_and_b32_e32 v133, 3, v82
	v_or3_b32 v81, v132, v81, v133
	s_delay_alu instid0(VALU_DEP_1)
	v_cndmask_b32_e32 v20, 0, v81, vcc_lo
.LBB2_575:                              ;   in Loop: Header=BB2_530 Depth=2
	s_or_b32 exec_lo, exec_lo, s19
.LBB2_576:                              ;   in Loop: Header=BB2_530 Depth=2
	s_delay_alu instid0(SALU_CYCLE_1) | instskip(SKIP_3) | instid1(SALU_CYCLE_1)
	s_or_b32 exec_lo, exec_lo, s9
	v_lshrrev_b16 v82, 8, v17
	v_lshrrev_b16 v81, 8, v97
                                        ; implicit-def: $vgpr132
	s_and_saveexec_b32 s8, s6
	s_xor_b32 s8, exec_lo, s8
	s_cbranch_execz .LBB2_586
; %bb.577:                              ;   in Loop: Header=BB2_530 Depth=2
	s_mov_b32 s9, 0
	s_mov_b32 s20, exec_lo
                                        ; implicit-def: $sgpr19
	v_cmpx_lt_i16_e32 0x7f, v82
	s_xor_b32 s20, exec_lo, s20
	s_cbranch_execnz .LBB2_806
; %bb.578:                              ;   in Loop: Header=BB2_530 Depth=2
	s_or_saveexec_b32 s20, s20
	v_mov_b32_e32 v132, s19
	s_xor_b32 exec_lo, exec_lo, s20
	s_cbranch_execnz .LBB2_809
.LBB2_579:                              ;   in Loop: Header=BB2_530 Depth=2
	s_or_b32 exec_lo, exec_lo, s20
	s_and_saveexec_b32 s19, s9
	s_cbranch_execz .LBB2_581
.LBB2_580:                              ;   in Loop: Header=BB2_530 Depth=2
	v_and_b32_e32 v82, 0xffff, v82
	s_delay_alu instid0(VALU_DEP_1) | instskip(NEXT) | instid1(VALU_DEP_1)
	v_and_b32_e32 v132, 3, v82
	v_clz_i32_u32_e32 v133, v132
	s_delay_alu instid0(VALU_DEP_1) | instskip(NEXT) | instid1(VALU_DEP_1)
	v_min_u32_e32 v133, 32, v133
	v_subrev_nc_u32_e32 v134, 29, v133
	v_sub_nc_u32_e32 v133, 30, v133
	s_delay_alu instid0(VALU_DEP_2) | instskip(SKIP_1) | instid1(VALU_DEP_2)
	v_lshlrev_b32_e32 v134, v134, v82
	v_bfe_u32 v82, v82, 2, 5
	v_and_b32_e32 v134, 3, v134
	s_delay_alu instid0(VALU_DEP_2) | instskip(NEXT) | instid1(VALU_DEP_2)
	v_cmp_eq_u32_e32 vcc_lo, 0, v82
	v_dual_cndmask_b32 v132, v132, v134 :: v_dual_lshlrev_b32 v135, 16, v17
	s_delay_alu instid0(VALU_DEP_1) | instskip(NEXT) | instid1(VALU_DEP_2)
	v_dual_cndmask_b32 v82, v82, v133 :: v_dual_and_b32 v133, 0x80000000, v135
	v_lshlrev_b32_e32 v132, 21, v132
	s_delay_alu instid0(VALU_DEP_2) | instskip(NEXT) | instid1(VALU_DEP_1)
	v_lshl_add_u32 v82, v82, 23, 0x37800000
	v_or3_b32 v132, v133, v82, v132
.LBB2_581:                              ;   in Loop: Header=BB2_530 Depth=2
	s_or_b32 exec_lo, exec_lo, s19
	s_mov_b32 s9, 0
	s_mov_b32 s20, exec_lo
                                        ; implicit-def: $sgpr19
	v_cmpx_lt_i16_e32 0x7f, v81
	s_xor_b32 s20, exec_lo, s20
	s_cbranch_execnz .LBB2_810
; %bb.582:                              ;   in Loop: Header=BB2_530 Depth=2
	s_or_saveexec_b32 s20, s20
	v_mov_b32_e32 v82, s19
	s_xor_b32 exec_lo, exec_lo, s20
	s_cbranch_execnz .LBB2_813
.LBB2_583:                              ;   in Loop: Header=BB2_530 Depth=2
	s_or_b32 exec_lo, exec_lo, s20
	s_and_saveexec_b32 s19, s9
	s_cbranch_execz .LBB2_585
.LBB2_584:                              ;   in Loop: Header=BB2_530 Depth=2
	v_and_b32_e32 v81, 0xffff, v81
	v_lshlrev_b32_e32 v135, 16, v97
	s_delay_alu instid0(VALU_DEP_2) | instskip(NEXT) | instid1(VALU_DEP_1)
	v_and_b32_e32 v82, 3, v81
	v_clz_i32_u32_e32 v133, v82
	s_delay_alu instid0(VALU_DEP_1) | instskip(NEXT) | instid1(VALU_DEP_1)
	v_min_u32_e32 v133, 32, v133
	v_subrev_nc_u32_e32 v134, 29, v133
	v_sub_nc_u32_e32 v133, 30, v133
	s_delay_alu instid0(VALU_DEP_2) | instskip(SKIP_1) | instid1(VALU_DEP_1)
	v_lshlrev_b32_e32 v134, v134, v81
	v_bfe_u32 v81, v81, 2, 5
	v_cmp_eq_u32_e32 vcc_lo, 0, v81
	s_delay_alu instid0(VALU_DEP_3) | instskip(NEXT) | instid1(VALU_DEP_1)
	v_dual_cndmask_b32 v81, v81, v133 :: v_dual_and_b32 v134, 3, v134
	v_dual_cndmask_b32 v82, v82, v134 :: v_dual_and_b32 v133, 0x80000000, v135
	s_delay_alu instid0(VALU_DEP_2) | instskip(NEXT) | instid1(VALU_DEP_2)
	v_lshl_add_u32 v81, v81, 23, 0x37800000
	v_lshlrev_b32_e32 v82, 21, v82
	s_delay_alu instid0(VALU_DEP_1)
	v_or3_b32 v82, v133, v81, v82
.LBB2_585:                              ;   in Loop: Header=BB2_530 Depth=2
	s_or_b32 exec_lo, exec_lo, s19
	s_delay_alu instid0(VALU_DEP_1) | instskip(NEXT) | instid1(VALU_DEP_1)
	v_dual_max_f32 v81, v82, v82 :: v_dual_max_f32 v82, v132, v132
	v_max_f32_e32 v132, v82, v81
                                        ; implicit-def: $vgpr81
                                        ; implicit-def: $vgpr82
.LBB2_586:                              ;   in Loop: Header=BB2_530 Depth=2
	s_and_not1_saveexec_b32 s8, s8
	s_cbranch_execz .LBB2_596
; %bb.587:                              ;   in Loop: Header=BB2_530 Depth=2
	s_mov_b32 s9, 0
	s_mov_b32 s20, exec_lo
                                        ; implicit-def: $sgpr19
	v_cmpx_lt_i16_e32 0x7f, v82
	s_xor_b32 s20, exec_lo, s20
	s_cbranch_execnz .LBB2_814
; %bb.588:                              ;   in Loop: Header=BB2_530 Depth=2
	s_or_saveexec_b32 s20, s20
	v_mov_b32_e32 v132, s19
	s_xor_b32 exec_lo, exec_lo, s20
	s_cbranch_execnz .LBB2_817
.LBB2_589:                              ;   in Loop: Header=BB2_530 Depth=2
	s_or_b32 exec_lo, exec_lo, s20
	s_and_saveexec_b32 s19, s9
	s_cbranch_execz .LBB2_591
.LBB2_590:                              ;   in Loop: Header=BB2_530 Depth=2
	v_and_b32_e32 v82, 0xffff, v82
	s_delay_alu instid0(VALU_DEP_1) | instskip(NEXT) | instid1(VALU_DEP_1)
	v_and_b32_e32 v132, 3, v82
	v_clz_i32_u32_e32 v133, v132
	s_delay_alu instid0(VALU_DEP_1) | instskip(NEXT) | instid1(VALU_DEP_1)
	v_min_u32_e32 v133, 32, v133
	v_subrev_nc_u32_e32 v134, 29, v133
	v_sub_nc_u32_e32 v133, 30, v133
	s_delay_alu instid0(VALU_DEP_2) | instskip(SKIP_1) | instid1(VALU_DEP_2)
	v_lshlrev_b32_e32 v134, v134, v82
	v_bfe_u32 v82, v82, 2, 5
	v_and_b32_e32 v134, 3, v134
	s_delay_alu instid0(VALU_DEP_2) | instskip(NEXT) | instid1(VALU_DEP_2)
	v_cmp_eq_u32_e32 vcc_lo, 0, v82
	v_dual_cndmask_b32 v132, v132, v134 :: v_dual_lshlrev_b32 v135, 16, v17
	s_delay_alu instid0(VALU_DEP_1) | instskip(NEXT) | instid1(VALU_DEP_2)
	v_dual_cndmask_b32 v82, v82, v133 :: v_dual_and_b32 v133, 0x80000000, v135
	v_lshlrev_b32_e32 v132, 21, v132
	s_delay_alu instid0(VALU_DEP_2) | instskip(NEXT) | instid1(VALU_DEP_1)
	v_lshl_add_u32 v82, v82, 23, 0x37800000
	v_or3_b32 v132, v133, v82, v132
.LBB2_591:                              ;   in Loop: Header=BB2_530 Depth=2
	s_or_b32 exec_lo, exec_lo, s19
	s_mov_b32 s9, 0
	s_mov_b32 s20, exec_lo
                                        ; implicit-def: $sgpr19
	v_cmpx_lt_i16_e32 0x7f, v81
	s_xor_b32 s20, exec_lo, s20
	s_cbranch_execnz .LBB2_818
; %bb.592:                              ;   in Loop: Header=BB2_530 Depth=2
	s_or_saveexec_b32 s20, s20
	v_mov_b32_e32 v82, s19
	s_xor_b32 exec_lo, exec_lo, s20
	s_cbranch_execnz .LBB2_821
.LBB2_593:                              ;   in Loop: Header=BB2_530 Depth=2
	s_or_b32 exec_lo, exec_lo, s20
	s_and_saveexec_b32 s19, s9
	s_cbranch_execz .LBB2_595
.LBB2_594:                              ;   in Loop: Header=BB2_530 Depth=2
	v_and_b32_e32 v81, 0xffff, v81
	v_lshlrev_b32_e32 v135, 16, v97
	s_delay_alu instid0(VALU_DEP_2) | instskip(NEXT) | instid1(VALU_DEP_1)
	v_and_b32_e32 v82, 3, v81
	v_clz_i32_u32_e32 v133, v82
	s_delay_alu instid0(VALU_DEP_1) | instskip(NEXT) | instid1(VALU_DEP_1)
	v_min_u32_e32 v133, 32, v133
	v_subrev_nc_u32_e32 v134, 29, v133
	v_sub_nc_u32_e32 v133, 30, v133
	s_delay_alu instid0(VALU_DEP_2) | instskip(SKIP_1) | instid1(VALU_DEP_1)
	v_lshlrev_b32_e32 v134, v134, v81
	v_bfe_u32 v81, v81, 2, 5
	v_cmp_eq_u32_e32 vcc_lo, 0, v81
	s_delay_alu instid0(VALU_DEP_3) | instskip(NEXT) | instid1(VALU_DEP_1)
	v_dual_cndmask_b32 v81, v81, v133 :: v_dual_and_b32 v134, 3, v134
	v_dual_cndmask_b32 v82, v82, v134 :: v_dual_and_b32 v133, 0x80000000, v135
	s_delay_alu instid0(VALU_DEP_2) | instskip(NEXT) | instid1(VALU_DEP_2)
	v_lshl_add_u32 v81, v81, 23, 0x37800000
	v_lshlrev_b32_e32 v82, 21, v82
	s_delay_alu instid0(VALU_DEP_1)
	v_or3_b32 v82, v133, v81, v82
.LBB2_595:                              ;   in Loop: Header=BB2_530 Depth=2
	s_or_b32 exec_lo, exec_lo, s19
	s_delay_alu instid0(VALU_DEP_1) | instskip(NEXT) | instid1(VALU_DEP_1)
	v_dual_max_f32 v81, v82, v82 :: v_dual_max_f32 v82, v132, v132
	v_min_f32_e32 v132, v82, v81
.LBB2_596:                              ;   in Loop: Header=BB2_530 Depth=2
	s_or_b32 exec_lo, exec_lo, s8
	s_delay_alu instid0(VALU_DEP_1) | instskip(NEXT) | instid1(VALU_DEP_1)
	v_and_b32_e32 v81, 0x7f800000, v132
	v_cmp_ne_u32_e32 vcc_lo, 0x7f800000, v81
	v_mov_b32_e32 v81, 0x80
	s_and_saveexec_b32 s9, vcc_lo
	s_cbranch_execz .LBB2_604
; %bb.597:                              ;   in Loop: Header=BB2_530 Depth=2
	v_mov_b32_e32 v81, 0
	s_mov_b32 s19, exec_lo
	v_cmpx_ne_u32_e32 0, v132
	s_cbranch_execz .LBB2_603
; %bb.598:                              ;   in Loop: Header=BB2_530 Depth=2
	v_bfe_u32 v81, v132, 23, 8
	s_delay_alu instid0(VALU_DEP_1) | instskip(SKIP_1) | instid1(VALU_DEP_2)
	v_sub_nc_u32_e32 v133, 0x70, v81
	v_cmp_gt_u32_e32 vcc_lo, 0x71, v81
	v_dual_cndmask_b32 v133, 0, v133 :: v_dual_and_b32 v82, 0x7fffff, v132
	s_delay_alu instid0(VALU_DEP_1) | instskip(SKIP_2) | instid1(VALU_DEP_4)
	v_or_b32_e32 v134, 0x800000, v82
	v_cmp_eq_u32_e32 vcc_lo, 0, v81
	v_add_nc_u32_e32 v81, 0xffffff91, v81
	v_cndmask_b32_e64 v133, v133, 0x6f, vcc_lo
	s_delay_alu instid0(VALU_DEP_4) | instskip(NEXT) | instid1(VALU_DEP_3)
	v_cndmask_b32_e32 v82, v134, v82, vcc_lo
	v_cndmask_b32_e64 v81, v81, 0xffffff92, vcc_lo
	s_delay_alu instid0(VALU_DEP_3) | instskip(NEXT) | instid1(VALU_DEP_3)
	v_lshl_add_u32 v134, 0x200000, v133, -1
	v_lshrrev_b32_e32 v135, v133, v82
	v_lshlrev_b32_e64 v145, v133, 0x100000
	s_delay_alu instid0(VALU_DEP_4) | instskip(NEXT) | instid1(VALU_DEP_4)
	v_add_nc_u32_e32 v133, v133, v81
	v_and_b32_e32 v82, v134, v82
	s_delay_alu instid0(VALU_DEP_4) | instskip(NEXT) | instid1(VALU_DEP_2)
	v_bfe_u32 v144, v135, 21, 1
	v_cmp_eq_u32_e64 s8, v82, v145
	s_delay_alu instid0(VALU_DEP_2) | instskip(NEXT) | instid1(VALU_DEP_1)
	v_add_nc_u32_e32 v134, -1, v144
	v_cndmask_b32_e64 v82, 0, v134, s8
	v_lshrrev_b32_e32 v134, 23, v135
	s_mov_b32 s8, exec_lo
	s_delay_alu instid0(VALU_DEP_2) | instskip(NEXT) | instid1(VALU_DEP_2)
	v_add_nc_u32_e32 v82, v82, v135
	v_xor_b32_e32 v134, 1, v134
	s_delay_alu instid0(VALU_DEP_2) | instskip(NEXT) | instid1(VALU_DEP_1)
	v_and_b32_e32 v81, 0x1fffff, v82
	v_add_nc_u32_e32 v82, v81, v135
                                        ; implicit-def: $vgpr81
	s_delay_alu instid0(VALU_DEP_3)
	v_cmpx_ne_u32_e64 v133, v134
	s_xor_b32 s8, exec_lo, s8
; %bb.599:                              ;   in Loop: Header=BB2_530 Depth=2
	s_delay_alu instid0(VALU_DEP_2) | instskip(SKIP_2) | instid1(VALU_DEP_2)
	v_cmp_lt_u32_e32 vcc_lo, 0xffffff, v82
	v_sub_nc_u32_e32 v81, v133, v134
	v_cndmask_b32_e64 v133, 0, 1, vcc_lo
	v_add_co_ci_u32_e32 v81, vcc_lo, 0, v81, vcc_lo
	s_delay_alu instid0(VALU_DEP_2)
	v_lshrrev_b32_e32 v82, v133, v82
; %bb.600:                              ;   in Loop: Header=BB2_530 Depth=2
	s_and_not1_saveexec_b32 s8, s8
; %bb.601:                              ;   in Loop: Header=BB2_530 Depth=2
	s_delay_alu instid0(VALU_DEP_1)
	v_bfe_u32 v81, v82, 23, 1
; %bb.602:                              ;   in Loop: Header=BB2_530 Depth=2
	s_or_b32 exec_lo, exec_lo, s8
	v_lshrrev_b32_e32 v82, 21, v82
	s_delay_alu instid0(VALU_DEP_2) | instskip(SKIP_2) | instid1(VALU_DEP_2)
	v_cmp_gt_i32_e32 vcc_lo, 32, v81
	v_min_i32_e32 v133, 31, v81
	v_lshrrev_b32_e32 v132, 24, v132
	v_dual_cndmask_b32 v82, 3, v82 :: v_dual_lshlrev_b32 v133, 2, v133
	s_delay_alu instid0(VALU_DEP_1) | instskip(SKIP_1) | instid1(VALU_DEP_2)
	v_or_b32_e32 v81, v81, v82
	v_and_b32_e32 v134, 3, v82
	v_cmp_ne_u32_e32 vcc_lo, 0, v81
	v_and_b32_e32 v132, 0x80, v132
	s_delay_alu instid0(VALU_DEP_1) | instskip(NEXT) | instid1(VALU_DEP_1)
	v_or3_b32 v82, v133, v132, v134
	v_cndmask_b32_e32 v81, 0, v82, vcc_lo
.LBB2_603:                              ;   in Loop: Header=BB2_530 Depth=2
	s_or_b32 exec_lo, exec_lo, s19
.LBB2_604:                              ;   in Loop: Header=BB2_530 Depth=2
	s_delay_alu instid0(SALU_CYCLE_1) | instskip(SKIP_3) | instid1(SALU_CYCLE_1)
	s_or_b32 exec_lo, exec_lo, s9
	v_lshrrev_b32_e32 v132, 16, v17
	v_lshrrev_b32_e32 v82, 16, v97
                                        ; implicit-def: $vgpr133
	s_and_saveexec_b32 s8, s6
	s_xor_b32 s8, exec_lo, s8
	s_cbranch_execz .LBB2_614
; %bb.605:                              ;   in Loop: Header=BB2_530 Depth=2
	v_and_b32_e32 v134, 0xff, v132
	s_mov_b32 s9, 0
	s_mov_b32 s20, exec_lo
                                        ; implicit-def: $sgpr19
	s_delay_alu instid0(VALU_DEP_1)
	v_cmpx_lt_i16_e64 0x7f, v134
	s_xor_b32 s20, exec_lo, s20
	s_cbranch_execnz .LBB2_822
; %bb.606:                              ;   in Loop: Header=BB2_530 Depth=2
	s_or_saveexec_b32 s20, s20
	v_mov_b32_e32 v133, s19
	s_xor_b32 exec_lo, exec_lo, s20
	s_cbranch_execnz .LBB2_825
.LBB2_607:                              ;   in Loop: Header=BB2_530 Depth=2
	s_or_b32 exec_lo, exec_lo, s20
	s_and_saveexec_b32 s19, s9
	s_cbranch_execz .LBB2_609
.LBB2_608:                              ;   in Loop: Header=BB2_530 Depth=2
	v_bfe_u32 v133, v17, 16, 2
	v_bfe_u32 v144, v17, 18, 5
	s_delay_alu instid0(VALU_DEP_2) | instskip(NEXT) | instid1(VALU_DEP_2)
	v_clz_i32_u32_e32 v134, v133
	v_cmp_eq_u32_e32 vcc_lo, 0, v144
	s_delay_alu instid0(VALU_DEP_2) | instskip(NEXT) | instid1(VALU_DEP_1)
	v_min_u32_e32 v134, 32, v134
	v_subrev_nc_u32_e32 v135, 29, v134
	v_sub_nc_u32_e32 v134, 30, v134
	s_delay_alu instid0(VALU_DEP_1) | instskip(NEXT) | instid1(VALU_DEP_1)
	v_dual_cndmask_b32 v134, v144, v134 :: v_dual_lshlrev_b32 v135, v135, v132
	v_and_b32_e32 v135, 3, v135
	v_lshlrev_b32_e32 v132, 24, v132
	s_delay_alu instid0(VALU_DEP_3) | instskip(NEXT) | instid1(VALU_DEP_2)
	v_lshl_add_u32 v134, v134, 23, 0x37800000
	v_dual_cndmask_b32 v133, v133, v135 :: v_dual_and_b32 v132, 0x80000000, v132
	s_delay_alu instid0(VALU_DEP_1) | instskip(NEXT) | instid1(VALU_DEP_1)
	v_lshlrev_b32_e32 v133, 21, v133
	v_or3_b32 v133, v132, v134, v133
.LBB2_609:                              ;   in Loop: Header=BB2_530 Depth=2
	s_or_b32 exec_lo, exec_lo, s19
	v_and_b32_e32 v134, 0xff, v82
	s_mov_b32 s9, 0
	s_mov_b32 s20, exec_lo
                                        ; implicit-def: $sgpr19
	s_delay_alu instid0(VALU_DEP_1)
	v_cmpx_lt_i16_e64 0x7f, v134
	s_xor_b32 s20, exec_lo, s20
	s_cbranch_execnz .LBB2_826
; %bb.610:                              ;   in Loop: Header=BB2_530 Depth=2
	s_or_saveexec_b32 s20, s20
	v_mov_b32_e32 v132, s19
	s_xor_b32 exec_lo, exec_lo, s20
	s_cbranch_execnz .LBB2_829
.LBB2_611:                              ;   in Loop: Header=BB2_530 Depth=2
	s_or_b32 exec_lo, exec_lo, s20
	s_and_saveexec_b32 s19, s9
	s_cbranch_execz .LBB2_613
.LBB2_612:                              ;   in Loop: Header=BB2_530 Depth=2
	v_bfe_u32 v132, v97, 16, 2
	v_bfe_u32 v144, v97, 18, 5
	s_delay_alu instid0(VALU_DEP_2) | instskip(NEXT) | instid1(VALU_DEP_2)
	v_clz_i32_u32_e32 v134, v132
	v_cmp_eq_u32_e32 vcc_lo, 0, v144
	s_delay_alu instid0(VALU_DEP_2) | instskip(NEXT) | instid1(VALU_DEP_1)
	v_min_u32_e32 v134, 32, v134
	v_subrev_nc_u32_e32 v135, 29, v134
	v_sub_nc_u32_e32 v134, 30, v134
	s_delay_alu instid0(VALU_DEP_2) | instskip(SKIP_1) | instid1(VALU_DEP_2)
	v_lshlrev_b32_e32 v135, v135, v82
	v_lshlrev_b32_e32 v82, 24, v82
	v_dual_cndmask_b32 v134, v144, v134 :: v_dual_and_b32 v135, 3, v135
	s_delay_alu instid0(VALU_DEP_2) | instskip(NEXT) | instid1(VALU_DEP_2)
	v_and_b32_e32 v82, 0x80000000, v82
	v_lshl_add_u32 v134, v134, 23, 0x37800000
	s_delay_alu instid0(VALU_DEP_3) | instskip(NEXT) | instid1(VALU_DEP_1)
	v_cndmask_b32_e32 v132, v132, v135, vcc_lo
	v_lshlrev_b32_e32 v132, 21, v132
	s_delay_alu instid0(VALU_DEP_1)
	v_or3_b32 v132, v82, v134, v132
.LBB2_613:                              ;   in Loop: Header=BB2_530 Depth=2
	s_or_b32 exec_lo, exec_lo, s19
	s_delay_alu instid0(VALU_DEP_1) | instskip(SKIP_1) | instid1(VALU_DEP_1)
	v_max_f32_e32 v82, v132, v132
	v_max_f32_e32 v132, v133, v133
	;; [unrolled: 1-line block ×3, first 2 shown]
                                        ; implicit-def: $vgpr82
                                        ; implicit-def: $vgpr132
.LBB2_614:                              ;   in Loop: Header=BB2_530 Depth=2
	s_and_not1_saveexec_b32 s8, s8
	s_cbranch_execz .LBB2_624
; %bb.615:                              ;   in Loop: Header=BB2_530 Depth=2
	v_and_b32_e32 v134, 0xff, v132
	s_mov_b32 s9, 0
	s_mov_b32 s20, exec_lo
                                        ; implicit-def: $sgpr19
	s_delay_alu instid0(VALU_DEP_1)
	v_cmpx_lt_i16_e64 0x7f, v134
	s_xor_b32 s20, exec_lo, s20
	s_cbranch_execnz .LBB2_830
; %bb.616:                              ;   in Loop: Header=BB2_530 Depth=2
	s_or_saveexec_b32 s20, s20
	v_mov_b32_e32 v133, s19
	s_xor_b32 exec_lo, exec_lo, s20
	s_cbranch_execnz .LBB2_833
.LBB2_617:                              ;   in Loop: Header=BB2_530 Depth=2
	s_or_b32 exec_lo, exec_lo, s20
	s_and_saveexec_b32 s19, s9
	s_cbranch_execz .LBB2_619
.LBB2_618:                              ;   in Loop: Header=BB2_530 Depth=2
	v_bfe_u32 v133, v17, 16, 2
	v_bfe_u32 v144, v17, 18, 5
	s_delay_alu instid0(VALU_DEP_2) | instskip(NEXT) | instid1(VALU_DEP_2)
	v_clz_i32_u32_e32 v134, v133
	v_cmp_eq_u32_e32 vcc_lo, 0, v144
	s_delay_alu instid0(VALU_DEP_2) | instskip(NEXT) | instid1(VALU_DEP_1)
	v_min_u32_e32 v134, 32, v134
	v_subrev_nc_u32_e32 v135, 29, v134
	v_sub_nc_u32_e32 v134, 30, v134
	s_delay_alu instid0(VALU_DEP_1) | instskip(NEXT) | instid1(VALU_DEP_1)
	v_dual_cndmask_b32 v134, v144, v134 :: v_dual_lshlrev_b32 v135, v135, v132
	v_and_b32_e32 v135, 3, v135
	v_lshlrev_b32_e32 v132, 24, v132
	s_delay_alu instid0(VALU_DEP_3) | instskip(NEXT) | instid1(VALU_DEP_2)
	v_lshl_add_u32 v134, v134, 23, 0x37800000
	v_dual_cndmask_b32 v133, v133, v135 :: v_dual_and_b32 v132, 0x80000000, v132
	s_delay_alu instid0(VALU_DEP_1) | instskip(NEXT) | instid1(VALU_DEP_1)
	v_lshlrev_b32_e32 v133, 21, v133
	v_or3_b32 v133, v132, v134, v133
.LBB2_619:                              ;   in Loop: Header=BB2_530 Depth=2
	s_or_b32 exec_lo, exec_lo, s19
	v_and_b32_e32 v134, 0xff, v82
	s_mov_b32 s9, 0
	s_mov_b32 s20, exec_lo
                                        ; implicit-def: $sgpr19
	s_delay_alu instid0(VALU_DEP_1)
	v_cmpx_lt_i16_e64 0x7f, v134
	s_xor_b32 s20, exec_lo, s20
	s_cbranch_execnz .LBB2_834
; %bb.620:                              ;   in Loop: Header=BB2_530 Depth=2
	s_or_saveexec_b32 s20, s20
	v_mov_b32_e32 v132, s19
	s_xor_b32 exec_lo, exec_lo, s20
	s_cbranch_execnz .LBB2_837
.LBB2_621:                              ;   in Loop: Header=BB2_530 Depth=2
	s_or_b32 exec_lo, exec_lo, s20
	s_and_saveexec_b32 s19, s9
	s_cbranch_execz .LBB2_623
.LBB2_622:                              ;   in Loop: Header=BB2_530 Depth=2
	v_bfe_u32 v132, v97, 16, 2
	v_bfe_u32 v144, v97, 18, 5
	s_delay_alu instid0(VALU_DEP_2) | instskip(NEXT) | instid1(VALU_DEP_2)
	v_clz_i32_u32_e32 v134, v132
	v_cmp_eq_u32_e32 vcc_lo, 0, v144
	s_delay_alu instid0(VALU_DEP_2) | instskip(NEXT) | instid1(VALU_DEP_1)
	v_min_u32_e32 v134, 32, v134
	v_subrev_nc_u32_e32 v135, 29, v134
	v_sub_nc_u32_e32 v134, 30, v134
	s_delay_alu instid0(VALU_DEP_2) | instskip(SKIP_1) | instid1(VALU_DEP_2)
	v_lshlrev_b32_e32 v135, v135, v82
	v_lshlrev_b32_e32 v82, 24, v82
	v_dual_cndmask_b32 v134, v144, v134 :: v_dual_and_b32 v135, 3, v135
	s_delay_alu instid0(VALU_DEP_2) | instskip(NEXT) | instid1(VALU_DEP_2)
	v_and_b32_e32 v82, 0x80000000, v82
	v_lshl_add_u32 v134, v134, 23, 0x37800000
	s_delay_alu instid0(VALU_DEP_3) | instskip(NEXT) | instid1(VALU_DEP_1)
	v_cndmask_b32_e32 v132, v132, v135, vcc_lo
	v_lshlrev_b32_e32 v132, 21, v132
	s_delay_alu instid0(VALU_DEP_1)
	v_or3_b32 v132, v82, v134, v132
.LBB2_623:                              ;   in Loop: Header=BB2_530 Depth=2
	s_or_b32 exec_lo, exec_lo, s19
	s_delay_alu instid0(VALU_DEP_1) | instskip(SKIP_1) | instid1(VALU_DEP_1)
	v_max_f32_e32 v82, v132, v132
	v_max_f32_e32 v132, v133, v133
	v_min_f32_e32 v133, v132, v82
.LBB2_624:                              ;   in Loop: Header=BB2_530 Depth=2
	s_or_b32 exec_lo, exec_lo, s8
	s_delay_alu instid0(VALU_DEP_1) | instskip(NEXT) | instid1(VALU_DEP_1)
	v_and_b32_e32 v82, 0x7f800000, v133
	v_cmp_ne_u32_e32 vcc_lo, 0x7f800000, v82
	v_mov_b32_e32 v82, 0x80
	s_and_saveexec_b32 s9, vcc_lo
	s_cbranch_execz .LBB2_632
; %bb.625:                              ;   in Loop: Header=BB2_530 Depth=2
	v_mov_b32_e32 v82, 0
	s_mov_b32 s19, exec_lo
	v_cmpx_ne_u32_e32 0, v133
	s_cbranch_execz .LBB2_631
; %bb.626:                              ;   in Loop: Header=BB2_530 Depth=2
	v_bfe_u32 v82, v133, 23, 8
	v_and_b32_e32 v132, 0x7fffff, v133
	s_delay_alu instid0(VALU_DEP_2) | instskip(SKIP_1) | instid1(VALU_DEP_3)
	v_sub_nc_u32_e32 v134, 0x70, v82
	v_cmp_gt_u32_e32 vcc_lo, 0x71, v82
	v_or_b32_e32 v135, 0x800000, v132
	s_delay_alu instid0(VALU_DEP_3) | instskip(SKIP_2) | instid1(VALU_DEP_3)
	v_cndmask_b32_e32 v134, 0, v134, vcc_lo
	v_cmp_eq_u32_e32 vcc_lo, 0, v82
	v_add_nc_u32_e32 v82, 0xffffff91, v82
	v_cndmask_b32_e64 v134, v134, 0x6f, vcc_lo
	v_cndmask_b32_e32 v132, v135, v132, vcc_lo
	s_delay_alu instid0(VALU_DEP_3) | instskip(NEXT) | instid1(VALU_DEP_3)
	v_cndmask_b32_e64 v82, v82, 0xffffff92, vcc_lo
	v_lshl_add_u32 v135, 0x200000, v134, -1
	s_delay_alu instid0(VALU_DEP_3) | instskip(SKIP_1) | instid1(VALU_DEP_4)
	v_lshrrev_b32_e32 v144, v134, v132
	v_lshlrev_b32_e64 v146, v134, 0x100000
	v_add_nc_u32_e32 v134, v134, v82
	s_delay_alu instid0(VALU_DEP_4) | instskip(NEXT) | instid1(VALU_DEP_4)
	v_and_b32_e32 v132, v135, v132
	v_bfe_u32 v145, v144, 21, 1
	s_delay_alu instid0(VALU_DEP_2) | instskip(NEXT) | instid1(VALU_DEP_2)
	v_cmp_eq_u32_e64 s8, v132, v146
	v_add_nc_u32_e32 v135, -1, v145
	s_delay_alu instid0(VALU_DEP_1) | instskip(SKIP_2) | instid1(VALU_DEP_2)
	v_cndmask_b32_e64 v132, 0, v135, s8
	v_lshrrev_b32_e32 v135, 23, v144
	s_mov_b32 s8, exec_lo
	v_add_nc_u32_e32 v132, v132, v144
	s_delay_alu instid0(VALU_DEP_2) | instskip(NEXT) | instid1(VALU_DEP_2)
	v_xor_b32_e32 v135, 1, v135
	v_and_b32_e32 v82, 0x1fffff, v132
	s_delay_alu instid0(VALU_DEP_1) | instskip(NEXT) | instid1(VALU_DEP_3)
	v_add_nc_u32_e32 v132, v82, v144
                                        ; implicit-def: $vgpr82
	v_cmpx_ne_u32_e64 v134, v135
	s_xor_b32 s8, exec_lo, s8
; %bb.627:                              ;   in Loop: Header=BB2_530 Depth=2
	s_delay_alu instid0(VALU_DEP_2) | instskip(SKIP_2) | instid1(VALU_DEP_2)
	v_cmp_lt_u32_e32 vcc_lo, 0xffffff, v132
	v_sub_nc_u32_e32 v82, v134, v135
	v_cndmask_b32_e64 v134, 0, 1, vcc_lo
	v_add_co_ci_u32_e32 v82, vcc_lo, 0, v82, vcc_lo
	s_delay_alu instid0(VALU_DEP_2)
	v_lshrrev_b32_e32 v132, v134, v132
; %bb.628:                              ;   in Loop: Header=BB2_530 Depth=2
	s_and_not1_saveexec_b32 s8, s8
; %bb.629:                              ;   in Loop: Header=BB2_530 Depth=2
	s_delay_alu instid0(VALU_DEP_1)
	v_bfe_u32 v82, v132, 23, 1
; %bb.630:                              ;   in Loop: Header=BB2_530 Depth=2
	s_or_b32 exec_lo, exec_lo, s8
	v_lshrrev_b32_e32 v132, 21, v132
	s_delay_alu instid0(VALU_DEP_2) | instskip(SKIP_2) | instid1(VALU_DEP_2)
	v_cmp_gt_i32_e32 vcc_lo, 32, v82
	v_lshrrev_b32_e32 v133, 24, v133
	v_min_i32_e32 v134, 31, v82
	v_dual_cndmask_b32 v132, 3, v132 :: v_dual_and_b32 v133, 0x80, v133
	s_delay_alu instid0(VALU_DEP_2) | instskip(NEXT) | instid1(VALU_DEP_2)
	v_lshlrev_b32_e32 v134, 2, v134
	v_and_b32_e32 v135, 3, v132
	v_or_b32_e32 v82, v82, v132
	s_delay_alu instid0(VALU_DEP_2) | instskip(NEXT) | instid1(VALU_DEP_2)
	v_or3_b32 v132, v134, v133, v135
	v_cmp_ne_u32_e32 vcc_lo, 0, v82
	s_delay_alu instid0(VALU_DEP_2)
	v_cndmask_b32_e32 v82, 0, v132, vcc_lo
.LBB2_631:                              ;   in Loop: Header=BB2_530 Depth=2
	s_or_b32 exec_lo, exec_lo, s19
.LBB2_632:                              ;   in Loop: Header=BB2_530 Depth=2
	s_delay_alu instid0(SALU_CYCLE_1) | instskip(SKIP_3) | instid1(SALU_CYCLE_1)
	s_or_b32 exec_lo, exec_lo, s9
	v_lshrrev_b32_e32 v133, 24, v17
	v_lshrrev_b32_e32 v132, 24, v97
                                        ; implicit-def: $vgpr134
	s_and_saveexec_b32 s8, s6
	s_xor_b32 s8, exec_lo, s8
	s_cbranch_execz .LBB2_642
; %bb.633:                              ;   in Loop: Header=BB2_530 Depth=2
	s_mov_b32 s9, 0
	s_mov_b32 s20, exec_lo
                                        ; implicit-def: $sgpr19
	v_cmpx_lt_i16_e64 0x7f, v133
	s_xor_b32 s20, exec_lo, s20
	s_cbranch_execnz .LBB2_838
; %bb.634:                              ;   in Loop: Header=BB2_530 Depth=2
	s_or_saveexec_b32 s20, s20
	v_mov_b32_e32 v134, s19
	s_xor_b32 exec_lo, exec_lo, s20
	s_cbranch_execnz .LBB2_841
.LBB2_635:                              ;   in Loop: Header=BB2_530 Depth=2
	s_or_b32 exec_lo, exec_lo, s20
	s_and_saveexec_b32 s19, s9
	s_cbranch_execz .LBB2_637
.LBB2_636:                              ;   in Loop: Header=BB2_530 Depth=2
	v_bfe_u32 v134, v17, 24, 2
	s_delay_alu instid0(VALU_DEP_1) | instskip(NEXT) | instid1(VALU_DEP_1)
	v_clz_i32_u32_e32 v135, v134
	v_min_u32_e32 v135, 32, v135
	s_delay_alu instid0(VALU_DEP_1) | instskip(SKIP_1) | instid1(VALU_DEP_2)
	v_subrev_nc_u32_e32 v144, 29, v135
	v_sub_nc_u32_e32 v135, 30, v135
	v_lshlrev_b32_e32 v133, v144, v133
	v_bfe_u32 v144, v17, 26, 5
	v_and_b32_e32 v17, 0x80000000, v17
	s_delay_alu instid0(VALU_DEP_3) | instskip(NEXT) | instid1(VALU_DEP_3)
	v_and_b32_e32 v133, 3, v133
	v_cmp_eq_u32_e32 vcc_lo, 0, v144
	v_cndmask_b32_e32 v135, v144, v135, vcc_lo
	s_delay_alu instid0(VALU_DEP_3) | instskip(NEXT) | instid1(VALU_DEP_2)
	v_cndmask_b32_e32 v133, v134, v133, vcc_lo
	v_lshl_add_u32 v134, v135, 23, 0x37800000
	s_delay_alu instid0(VALU_DEP_2) | instskip(NEXT) | instid1(VALU_DEP_1)
	v_lshlrev_b32_e32 v133, 21, v133
	v_or3_b32 v134, v17, v134, v133
.LBB2_637:                              ;   in Loop: Header=BB2_530 Depth=2
	s_or_b32 exec_lo, exec_lo, s19
	s_mov_b32 s9, 0
	s_mov_b32 s20, exec_lo
                                        ; implicit-def: $sgpr19
	v_cmpx_lt_i16_e64 0x7f, v132
	s_xor_b32 s20, exec_lo, s20
	s_cbranch_execnz .LBB2_842
; %bb.638:                              ;   in Loop: Header=BB2_530 Depth=2
	s_or_saveexec_b32 s20, s20
	v_mov_b32_e32 v17, s19
	s_xor_b32 exec_lo, exec_lo, s20
	s_cbranch_execnz .LBB2_845
.LBB2_639:                              ;   in Loop: Header=BB2_530 Depth=2
	s_or_b32 exec_lo, exec_lo, s20
	s_and_saveexec_b32 s19, s9
	s_cbranch_execz .LBB2_641
.LBB2_640:                              ;   in Loop: Header=BB2_530 Depth=2
	v_bfe_u32 v17, v97, 24, 2
	s_delay_alu instid0(VALU_DEP_1) | instskip(NEXT) | instid1(VALU_DEP_1)
	v_clz_i32_u32_e32 v133, v17
	v_min_u32_e32 v133, 32, v133
	s_delay_alu instid0(VALU_DEP_1) | instskip(SKIP_1) | instid1(VALU_DEP_2)
	v_subrev_nc_u32_e32 v135, 29, v133
	v_sub_nc_u32_e32 v133, 30, v133
	v_lshlrev_b32_e32 v132, v135, v132
	v_bfe_u32 v135, v97, 26, 5
	v_and_b32_e32 v97, 0x80000000, v97
	s_delay_alu instid0(VALU_DEP_2) | instskip(NEXT) | instid1(VALU_DEP_4)
	v_cmp_eq_u32_e32 vcc_lo, 0, v135
	v_dual_cndmask_b32 v133, v135, v133 :: v_dual_and_b32 v132, 3, v132
	s_delay_alu instid0(VALU_DEP_1) | instskip(NEXT) | instid1(VALU_DEP_2)
	v_cndmask_b32_e32 v17, v17, v132, vcc_lo
	v_lshl_add_u32 v132, v133, 23, 0x37800000
	s_delay_alu instid0(VALU_DEP_2) | instskip(NEXT) | instid1(VALU_DEP_1)
	v_lshlrev_b32_e32 v17, 21, v17
	v_or3_b32 v17, v97, v132, v17
.LBB2_641:                              ;   in Loop: Header=BB2_530 Depth=2
	s_or_b32 exec_lo, exec_lo, s19
	s_delay_alu instid0(VALU_DEP_1) | instskip(SKIP_1) | instid1(VALU_DEP_1)
	v_max_f32_e32 v17, v17, v17
	v_max_f32_e32 v97, v134, v134
                                        ; implicit-def: $vgpr132
                                        ; implicit-def: $vgpr133
	v_max_f32_e32 v134, v97, v17
                                        ; implicit-def: $vgpr97
.LBB2_642:                              ;   in Loop: Header=BB2_530 Depth=2
	s_and_not1_saveexec_b32 s8, s8
	s_cbranch_execz .LBB2_652
; %bb.643:                              ;   in Loop: Header=BB2_530 Depth=2
	s_mov_b32 s9, 0
	s_mov_b32 s20, exec_lo
                                        ; implicit-def: $sgpr19
	v_cmpx_lt_i16_e64 0x7f, v133
	s_xor_b32 s20, exec_lo, s20
	s_cbranch_execnz .LBB2_846
; %bb.644:                              ;   in Loop: Header=BB2_530 Depth=2
	s_or_saveexec_b32 s20, s20
	v_mov_b32_e32 v134, s19
	s_xor_b32 exec_lo, exec_lo, s20
	s_cbranch_execnz .LBB2_849
.LBB2_645:                              ;   in Loop: Header=BB2_530 Depth=2
	s_or_b32 exec_lo, exec_lo, s20
	s_and_saveexec_b32 s19, s9
	s_cbranch_execz .LBB2_647
.LBB2_646:                              ;   in Loop: Header=BB2_530 Depth=2
	v_bfe_u32 v134, v17, 24, 2
	s_delay_alu instid0(VALU_DEP_1) | instskip(NEXT) | instid1(VALU_DEP_1)
	v_clz_i32_u32_e32 v135, v134
	v_min_u32_e32 v135, 32, v135
	s_delay_alu instid0(VALU_DEP_1) | instskip(SKIP_1) | instid1(VALU_DEP_2)
	v_subrev_nc_u32_e32 v144, 29, v135
	v_sub_nc_u32_e32 v135, 30, v135
	v_lshlrev_b32_e32 v133, v144, v133
	v_bfe_u32 v144, v17, 26, 5
	v_and_b32_e32 v17, 0x80000000, v17
	s_delay_alu instid0(VALU_DEP_3) | instskip(NEXT) | instid1(VALU_DEP_3)
	v_and_b32_e32 v133, 3, v133
	v_cmp_eq_u32_e32 vcc_lo, 0, v144
	v_cndmask_b32_e32 v135, v144, v135, vcc_lo
	s_delay_alu instid0(VALU_DEP_3) | instskip(NEXT) | instid1(VALU_DEP_2)
	v_cndmask_b32_e32 v133, v134, v133, vcc_lo
	v_lshl_add_u32 v134, v135, 23, 0x37800000
	s_delay_alu instid0(VALU_DEP_2) | instskip(NEXT) | instid1(VALU_DEP_1)
	v_lshlrev_b32_e32 v133, 21, v133
	v_or3_b32 v134, v17, v134, v133
.LBB2_647:                              ;   in Loop: Header=BB2_530 Depth=2
	s_or_b32 exec_lo, exec_lo, s19
	s_mov_b32 s9, 0
	s_mov_b32 s20, exec_lo
                                        ; implicit-def: $sgpr19
	v_cmpx_lt_i16_e64 0x7f, v132
	s_xor_b32 s20, exec_lo, s20
	s_cbranch_execnz .LBB2_850
; %bb.648:                              ;   in Loop: Header=BB2_530 Depth=2
	s_or_saveexec_b32 s20, s20
	v_mov_b32_e32 v17, s19
	s_xor_b32 exec_lo, exec_lo, s20
	s_cbranch_execnz .LBB2_853
.LBB2_649:                              ;   in Loop: Header=BB2_530 Depth=2
	s_or_b32 exec_lo, exec_lo, s20
	s_and_saveexec_b32 s19, s9
	s_cbranch_execz .LBB2_651
.LBB2_650:                              ;   in Loop: Header=BB2_530 Depth=2
	v_bfe_u32 v17, v97, 24, 2
	s_delay_alu instid0(VALU_DEP_1) | instskip(NEXT) | instid1(VALU_DEP_1)
	v_clz_i32_u32_e32 v133, v17
	v_min_u32_e32 v133, 32, v133
	s_delay_alu instid0(VALU_DEP_1) | instskip(SKIP_1) | instid1(VALU_DEP_2)
	v_subrev_nc_u32_e32 v135, 29, v133
	v_sub_nc_u32_e32 v133, 30, v133
	v_lshlrev_b32_e32 v132, v135, v132
	v_bfe_u32 v135, v97, 26, 5
	v_and_b32_e32 v97, 0x80000000, v97
	s_delay_alu instid0(VALU_DEP_2) | instskip(NEXT) | instid1(VALU_DEP_4)
	v_cmp_eq_u32_e32 vcc_lo, 0, v135
	v_dual_cndmask_b32 v133, v135, v133 :: v_dual_and_b32 v132, 3, v132
	s_delay_alu instid0(VALU_DEP_1) | instskip(NEXT) | instid1(VALU_DEP_2)
	v_cndmask_b32_e32 v17, v17, v132, vcc_lo
	v_lshl_add_u32 v132, v133, 23, 0x37800000
	s_delay_alu instid0(VALU_DEP_2) | instskip(NEXT) | instid1(VALU_DEP_1)
	v_lshlrev_b32_e32 v17, 21, v17
	v_or3_b32 v17, v97, v132, v17
.LBB2_651:                              ;   in Loop: Header=BB2_530 Depth=2
	s_or_b32 exec_lo, exec_lo, s19
	s_delay_alu instid0(VALU_DEP_1) | instskip(SKIP_1) | instid1(VALU_DEP_1)
	v_max_f32_e32 v17, v17, v17
	v_max_f32_e32 v97, v134, v134
	v_min_f32_e32 v134, v97, v17
.LBB2_652:                              ;   in Loop: Header=BB2_530 Depth=2
	s_or_b32 exec_lo, exec_lo, s8
	s_delay_alu instid0(VALU_DEP_1) | instskip(SKIP_2) | instid1(VALU_DEP_2)
	v_and_b32_e32 v17, 0x7f800000, v134
	v_mov_b32_e32 v97, 0x80
	s_mov_b32 s9, exec_lo
	v_cmpx_ne_u32_e32 0x7f800000, v17
	s_cbranch_execz .LBB2_660
; %bb.653:                              ;   in Loop: Header=BB2_530 Depth=2
	v_mov_b32_e32 v97, 0
	s_mov_b32 s19, exec_lo
	v_cmpx_ne_u32_e32 0, v134
	s_cbranch_execz .LBB2_659
; %bb.654:                              ;   in Loop: Header=BB2_530 Depth=2
	v_bfe_u32 v17, v134, 23, 8
	s_delay_alu instid0(VALU_DEP_1) | instskip(SKIP_1) | instid1(VALU_DEP_2)
	v_sub_nc_u32_e32 v132, 0x70, v17
	v_cmp_gt_u32_e32 vcc_lo, 0x71, v17
	v_dual_cndmask_b32 v132, 0, v132 :: v_dual_and_b32 v97, 0x7fffff, v134
	s_delay_alu instid0(VALU_DEP_1) | instskip(SKIP_2) | instid1(VALU_DEP_4)
	v_or_b32_e32 v133, 0x800000, v97
	v_cmp_eq_u32_e32 vcc_lo, 0, v17
	v_add_nc_u32_e32 v17, 0xffffff91, v17
	v_cndmask_b32_e64 v132, v132, 0x6f, vcc_lo
	s_delay_alu instid0(VALU_DEP_4) | instskip(NEXT) | instid1(VALU_DEP_3)
	v_cndmask_b32_e32 v97, v133, v97, vcc_lo
	v_cndmask_b32_e64 v17, v17, 0xffffff92, vcc_lo
	s_delay_alu instid0(VALU_DEP_3) | instskip(NEXT) | instid1(VALU_DEP_3)
	v_lshl_add_u32 v133, 0x200000, v132, -1
	v_lshrrev_b32_e32 v135, v132, v97
	v_lshlrev_b32_e64 v145, v132, 0x100000
	s_delay_alu instid0(VALU_DEP_4) | instskip(NEXT) | instid1(VALU_DEP_4)
	v_add_nc_u32_e32 v132, v132, v17
	v_and_b32_e32 v97, v133, v97
	s_delay_alu instid0(VALU_DEP_4) | instskip(NEXT) | instid1(VALU_DEP_2)
	v_bfe_u32 v144, v135, 21, 1
	v_cmp_eq_u32_e64 s8, v97, v145
	s_delay_alu instid0(VALU_DEP_2) | instskip(NEXT) | instid1(VALU_DEP_1)
	v_add_nc_u32_e32 v133, -1, v144
	v_cndmask_b32_e64 v97, 0, v133, s8
	v_lshrrev_b32_e32 v133, 23, v135
	s_mov_b32 s8, exec_lo
	s_delay_alu instid0(VALU_DEP_2) | instskip(NEXT) | instid1(VALU_DEP_2)
	v_add_nc_u32_e32 v97, v97, v135
	v_xor_b32_e32 v133, 1, v133
	s_delay_alu instid0(VALU_DEP_2) | instskip(NEXT) | instid1(VALU_DEP_1)
	v_and_b32_e32 v17, 0x1fffff, v97
	v_add_nc_u32_e32 v97, v17, v135
                                        ; implicit-def: $vgpr17
	s_delay_alu instid0(VALU_DEP_3)
	v_cmpx_ne_u32_e64 v132, v133
	s_xor_b32 s8, exec_lo, s8
; %bb.655:                              ;   in Loop: Header=BB2_530 Depth=2
	s_delay_alu instid0(VALU_DEP_2) | instskip(SKIP_2) | instid1(VALU_DEP_2)
	v_cmp_lt_u32_e32 vcc_lo, 0xffffff, v97
	v_sub_nc_u32_e32 v17, v132, v133
	v_cndmask_b32_e64 v132, 0, 1, vcc_lo
	v_add_co_ci_u32_e32 v17, vcc_lo, 0, v17, vcc_lo
	s_delay_alu instid0(VALU_DEP_2)
	v_lshrrev_b32_e32 v97, v132, v97
; %bb.656:                              ;   in Loop: Header=BB2_530 Depth=2
	s_and_not1_saveexec_b32 s8, s8
; %bb.657:                              ;   in Loop: Header=BB2_530 Depth=2
	s_delay_alu instid0(VALU_DEP_1)
	v_bfe_u32 v17, v97, 23, 1
; %bb.658:                              ;   in Loop: Header=BB2_530 Depth=2
	s_or_b32 exec_lo, exec_lo, s8
	v_lshrrev_b32_e32 v97, 21, v97
	s_delay_alu instid0(VALU_DEP_2) | instskip(SKIP_2) | instid1(VALU_DEP_2)
	v_cmp_gt_i32_e32 vcc_lo, 32, v17
	v_lshrrev_b32_e32 v132, 24, v134
	v_min_i32_e32 v133, 31, v17
	v_dual_cndmask_b32 v97, 3, v97 :: v_dual_and_b32 v132, 0x80, v132
	s_delay_alu instid0(VALU_DEP_2) | instskip(NEXT) | instid1(VALU_DEP_2)
	v_lshlrev_b32_e32 v133, 2, v133
	v_and_b32_e32 v134, 3, v97
	v_or_b32_e32 v17, v17, v97
	s_delay_alu instid0(VALU_DEP_2) | instskip(NEXT) | instid1(VALU_DEP_2)
	v_or3_b32 v97, v133, v132, v134
	v_cmp_ne_u32_e32 vcc_lo, 0, v17
	s_delay_alu instid0(VALU_DEP_2)
	v_cndmask_b32_e32 v97, 0, v97, vcc_lo
.LBB2_659:                              ;   in Loop: Header=BB2_530 Depth=2
	s_or_b32 exec_lo, exec_lo, s19
.LBB2_660:                              ;   in Loop: Header=BB2_530 Depth=2
	s_delay_alu instid0(SALU_CYCLE_1) | instskip(SKIP_2) | instid1(SALU_CYCLE_1)
	s_or_b32 exec_lo, exec_lo, s9
	v_alignbit_b32 v87, v87, v96, v18
                                        ; implicit-def: $vgpr18
	s_and_saveexec_b32 s8, s6
	s_xor_b32 s8, exec_lo, s8
	s_cbranch_execz .LBB2_670
; %bb.661:                              ;   in Loop: Header=BB2_530 Depth=2
	v_and_b32_e32 v18, 0xff, v19
	s_mov_b32 s9, 0
	s_mov_b32 s20, exec_lo
                                        ; implicit-def: $sgpr19
	s_delay_alu instid0(VALU_DEP_1)
	v_cmpx_lt_i16_e32 0x7f, v18
	s_xor_b32 s20, exec_lo, s20
	s_cbranch_execnz .LBB2_854
; %bb.662:                              ;   in Loop: Header=BB2_530 Depth=2
	s_or_saveexec_b32 s20, s20
	v_mov_b32_e32 v17, s19
	s_xor_b32 exec_lo, exec_lo, s20
	s_cbranch_execnz .LBB2_857
.LBB2_663:                              ;   in Loop: Header=BB2_530 Depth=2
	s_or_b32 exec_lo, exec_lo, s20
	s_and_saveexec_b32 s19, s9
	s_cbranch_execz .LBB2_665
.LBB2_664:                              ;   in Loop: Header=BB2_530 Depth=2
	v_bfe_u32 v132, v19, 2, 5
	v_lshlrev_b32_e32 v133, 24, v19
	s_delay_alu instid0(VALU_DEP_2) | instskip(SKIP_1) | instid1(VALU_DEP_1)
	v_cmp_eq_u32_e32 vcc_lo, 0, v132
	v_and_b32_e32 v17, 3, v19
	v_clz_i32_u32_e32 v18, v17
	s_delay_alu instid0(VALU_DEP_1) | instskip(NEXT) | instid1(VALU_DEP_1)
	v_min_u32_e32 v18, 32, v18
	v_subrev_nc_u32_e32 v96, 29, v18
	v_sub_nc_u32_e32 v18, 30, v18
	s_delay_alu instid0(VALU_DEP_2) | instskip(NEXT) | instid1(VALU_DEP_2)
	v_lshlrev_b32_e32 v96, v96, v19
	v_cndmask_b32_e32 v18, v132, v18, vcc_lo
	s_delay_alu instid0(VALU_DEP_2) | instskip(NEXT) | instid1(VALU_DEP_2)
	v_and_b32_e32 v96, 3, v96
	v_lshl_add_u32 v18, v18, 23, 0x37800000
	s_delay_alu instid0(VALU_DEP_2) | instskip(NEXT) | instid1(VALU_DEP_1)
	v_dual_cndmask_b32 v17, v17, v96 :: v_dual_and_b32 v96, 0x80000000, v133
	v_lshlrev_b32_e32 v17, 21, v17
	s_delay_alu instid0(VALU_DEP_1)
	v_or3_b32 v17, v96, v18, v17
.LBB2_665:                              ;   in Loop: Header=BB2_530 Depth=2
	s_or_b32 exec_lo, exec_lo, s19
	v_and_b32_e32 v96, 0xff, v87
	s_mov_b32 s9, 0
	s_mov_b32 s20, exec_lo
                                        ; implicit-def: $sgpr19
	s_delay_alu instid0(VALU_DEP_1)
	v_cmpx_lt_i16_e32 0x7f, v96
	s_xor_b32 s20, exec_lo, s20
	s_cbranch_execnz .LBB2_858
; %bb.666:                              ;   in Loop: Header=BB2_530 Depth=2
	s_or_saveexec_b32 s20, s20
	v_mov_b32_e32 v18, s19
	s_xor_b32 exec_lo, exec_lo, s20
	s_cbranch_execnz .LBB2_861
.LBB2_667:                              ;   in Loop: Header=BB2_530 Depth=2
	s_or_b32 exec_lo, exec_lo, s20
	s_and_saveexec_b32 s19, s9
	s_cbranch_execz .LBB2_669
.LBB2_668:                              ;   in Loop: Header=BB2_530 Depth=2
	v_and_b32_e32 v18, 3, v87
	v_bfe_u32 v133, v87, 2, 5
	v_lshlrev_b32_e32 v134, 24, v87
	s_delay_alu instid0(VALU_DEP_3) | instskip(NEXT) | instid1(VALU_DEP_3)
	v_clz_i32_u32_e32 v96, v18
	v_cmp_eq_u32_e32 vcc_lo, 0, v133
	s_delay_alu instid0(VALU_DEP_2) | instskip(NEXT) | instid1(VALU_DEP_1)
	v_min_u32_e32 v96, 32, v96
	v_subrev_nc_u32_e32 v132, 29, v96
	v_sub_nc_u32_e32 v96, 30, v96
	s_delay_alu instid0(VALU_DEP_2) | instskip(NEXT) | instid1(VALU_DEP_2)
	v_lshlrev_b32_e32 v132, v132, v87
	v_cndmask_b32_e32 v96, v133, v96, vcc_lo
	s_delay_alu instid0(VALU_DEP_2) | instskip(NEXT) | instid1(VALU_DEP_2)
	v_and_b32_e32 v132, 3, v132
	v_lshl_add_u32 v96, v96, 23, 0x37800000
	s_delay_alu instid0(VALU_DEP_2) | instskip(SKIP_1) | instid1(VALU_DEP_2)
	v_cndmask_b32_e32 v18, v18, v132, vcc_lo
	v_and_b32_e32 v132, 0x80000000, v134
	v_lshlrev_b32_e32 v18, 21, v18
	s_delay_alu instid0(VALU_DEP_1)
	v_or3_b32 v18, v132, v96, v18
.LBB2_669:                              ;   in Loop: Header=BB2_530 Depth=2
	s_or_b32 exec_lo, exec_lo, s19
	s_delay_alu instid0(VALU_DEP_1) | instskip(NEXT) | instid1(VALU_DEP_1)
	v_dual_max_f32 v18, v18, v18 :: v_dual_max_f32 v17, v17, v17
	v_max_f32_e32 v18, v17, v18
.LBB2_670:                              ;   in Loop: Header=BB2_530 Depth=2
	s_and_not1_saveexec_b32 s8, s8
	s_cbranch_execz .LBB2_680
; %bb.671:                              ;   in Loop: Header=BB2_530 Depth=2
	v_and_b32_e32 v18, 0xff, v19
	s_mov_b32 s9, 0
	s_mov_b32 s20, exec_lo
                                        ; implicit-def: $sgpr19
	s_delay_alu instid0(VALU_DEP_1)
	v_cmpx_lt_i16_e32 0x7f, v18
	s_xor_b32 s20, exec_lo, s20
	s_cbranch_execnz .LBB2_862
; %bb.672:                              ;   in Loop: Header=BB2_530 Depth=2
	s_or_saveexec_b32 s20, s20
	v_mov_b32_e32 v17, s19
	s_xor_b32 exec_lo, exec_lo, s20
	s_cbranch_execnz .LBB2_865
.LBB2_673:                              ;   in Loop: Header=BB2_530 Depth=2
	s_or_b32 exec_lo, exec_lo, s20
	s_and_saveexec_b32 s19, s9
	s_cbranch_execz .LBB2_675
.LBB2_674:                              ;   in Loop: Header=BB2_530 Depth=2
	v_bfe_u32 v132, v19, 2, 5
	v_lshlrev_b32_e32 v133, 24, v19
	s_delay_alu instid0(VALU_DEP_2) | instskip(SKIP_1) | instid1(VALU_DEP_1)
	v_cmp_eq_u32_e32 vcc_lo, 0, v132
	v_and_b32_e32 v17, 3, v19
	v_clz_i32_u32_e32 v18, v17
	s_delay_alu instid0(VALU_DEP_1) | instskip(NEXT) | instid1(VALU_DEP_1)
	v_min_u32_e32 v18, 32, v18
	v_subrev_nc_u32_e32 v96, 29, v18
	v_sub_nc_u32_e32 v18, 30, v18
	s_delay_alu instid0(VALU_DEP_2) | instskip(NEXT) | instid1(VALU_DEP_2)
	v_lshlrev_b32_e32 v96, v96, v19
	v_cndmask_b32_e32 v18, v132, v18, vcc_lo
	s_delay_alu instid0(VALU_DEP_2) | instskip(NEXT) | instid1(VALU_DEP_2)
	v_and_b32_e32 v96, 3, v96
	v_lshl_add_u32 v18, v18, 23, 0x37800000
	s_delay_alu instid0(VALU_DEP_2) | instskip(NEXT) | instid1(VALU_DEP_1)
	v_dual_cndmask_b32 v17, v17, v96 :: v_dual_and_b32 v96, 0x80000000, v133
	v_lshlrev_b32_e32 v17, 21, v17
	s_delay_alu instid0(VALU_DEP_1)
	v_or3_b32 v17, v96, v18, v17
.LBB2_675:                              ;   in Loop: Header=BB2_530 Depth=2
	s_or_b32 exec_lo, exec_lo, s19
	v_and_b32_e32 v96, 0xff, v87
	s_mov_b32 s9, 0
	s_mov_b32 s20, exec_lo
                                        ; implicit-def: $sgpr19
	s_delay_alu instid0(VALU_DEP_1)
	v_cmpx_lt_i16_e32 0x7f, v96
	s_xor_b32 s20, exec_lo, s20
	s_cbranch_execnz .LBB2_866
; %bb.676:                              ;   in Loop: Header=BB2_530 Depth=2
	s_or_saveexec_b32 s20, s20
	v_mov_b32_e32 v18, s19
	s_xor_b32 exec_lo, exec_lo, s20
	s_cbranch_execnz .LBB2_869
.LBB2_677:                              ;   in Loop: Header=BB2_530 Depth=2
	s_or_b32 exec_lo, exec_lo, s20
	s_and_saveexec_b32 s19, s9
	s_cbranch_execz .LBB2_679
.LBB2_678:                              ;   in Loop: Header=BB2_530 Depth=2
	v_and_b32_e32 v18, 3, v87
	v_bfe_u32 v133, v87, 2, 5
	v_lshlrev_b32_e32 v134, 24, v87
	s_delay_alu instid0(VALU_DEP_3) | instskip(NEXT) | instid1(VALU_DEP_3)
	v_clz_i32_u32_e32 v96, v18
	v_cmp_eq_u32_e32 vcc_lo, 0, v133
	s_delay_alu instid0(VALU_DEP_2) | instskip(NEXT) | instid1(VALU_DEP_1)
	v_min_u32_e32 v96, 32, v96
	v_subrev_nc_u32_e32 v132, 29, v96
	v_sub_nc_u32_e32 v96, 30, v96
	s_delay_alu instid0(VALU_DEP_2) | instskip(NEXT) | instid1(VALU_DEP_2)
	v_lshlrev_b32_e32 v132, v132, v87
	v_cndmask_b32_e32 v96, v133, v96, vcc_lo
	s_delay_alu instid0(VALU_DEP_2) | instskip(NEXT) | instid1(VALU_DEP_2)
	v_and_b32_e32 v132, 3, v132
	v_lshl_add_u32 v96, v96, 23, 0x37800000
	s_delay_alu instid0(VALU_DEP_2) | instskip(SKIP_1) | instid1(VALU_DEP_2)
	v_cndmask_b32_e32 v18, v18, v132, vcc_lo
	v_and_b32_e32 v132, 0x80000000, v134
	v_lshlrev_b32_e32 v18, 21, v18
	s_delay_alu instid0(VALU_DEP_1)
	v_or3_b32 v18, v132, v96, v18
.LBB2_679:                              ;   in Loop: Header=BB2_530 Depth=2
	s_or_b32 exec_lo, exec_lo, s19
	s_delay_alu instid0(VALU_DEP_1) | instskip(NEXT) | instid1(VALU_DEP_1)
	v_dual_max_f32 v18, v18, v18 :: v_dual_max_f32 v17, v17, v17
	v_min_f32_e32 v18, v17, v18
.LBB2_680:                              ;   in Loop: Header=BB2_530 Depth=2
	s_or_b32 exec_lo, exec_lo, s8
	s_delay_alu instid0(VALU_DEP_1) | instskip(NEXT) | instid1(VALU_DEP_1)
	v_dual_mov_b32 v17, v19 :: v_dual_and_b32 v96, 0x7f800000, v18
	v_cmp_ne_u32_e32 vcc_lo, 0x7f800000, v96
	v_mov_b32_e32 v96, 0x80
	s_and_saveexec_b32 s9, vcc_lo
	s_cbranch_execz .LBB2_688
; %bb.681:                              ;   in Loop: Header=BB2_530 Depth=2
	v_mov_b32_e32 v96, 0
	s_mov_b32 s19, exec_lo
	v_cmpx_ne_u32_e32 0, v18
	s_cbranch_execz .LBB2_687
; %bb.682:                              ;   in Loop: Header=BB2_530 Depth=2
	v_bfe_u32 v96, v18, 23, 8
	s_delay_alu instid0(VALU_DEP_1) | instskip(SKIP_1) | instid1(VALU_DEP_2)
	v_sub_nc_u32_e32 v133, 0x70, v96
	v_cmp_gt_u32_e32 vcc_lo, 0x71, v96
	v_dual_cndmask_b32 v133, 0, v133 :: v_dual_and_b32 v132, 0x7fffff, v18
	s_delay_alu instid0(VALU_DEP_1) | instskip(SKIP_2) | instid1(VALU_DEP_4)
	v_or_b32_e32 v134, 0x800000, v132
	v_cmp_eq_u32_e32 vcc_lo, 0, v96
	v_add_nc_u32_e32 v96, 0xffffff91, v96
	v_cndmask_b32_e64 v133, v133, 0x6f, vcc_lo
	s_delay_alu instid0(VALU_DEP_4) | instskip(NEXT) | instid1(VALU_DEP_3)
	v_cndmask_b32_e32 v132, v134, v132, vcc_lo
	v_cndmask_b32_e64 v96, v96, 0xffffff92, vcc_lo
	s_delay_alu instid0(VALU_DEP_3) | instskip(NEXT) | instid1(VALU_DEP_3)
	v_lshl_add_u32 v134, 0x200000, v133, -1
	v_lshrrev_b32_e32 v135, v133, v132
	v_lshlrev_b32_e64 v145, v133, 0x100000
	s_delay_alu instid0(VALU_DEP_4) | instskip(NEXT) | instid1(VALU_DEP_4)
	v_add_nc_u32_e32 v133, v133, v96
	v_and_b32_e32 v132, v134, v132
	s_delay_alu instid0(VALU_DEP_4) | instskip(NEXT) | instid1(VALU_DEP_2)
	v_bfe_u32 v144, v135, 21, 1
	v_cmp_eq_u32_e64 s8, v132, v145
	s_delay_alu instid0(VALU_DEP_2) | instskip(NEXT) | instid1(VALU_DEP_1)
	v_add_nc_u32_e32 v134, -1, v144
	v_cndmask_b32_e64 v132, 0, v134, s8
	v_lshrrev_b32_e32 v134, 23, v135
	s_mov_b32 s8, exec_lo
	s_delay_alu instid0(VALU_DEP_2) | instskip(NEXT) | instid1(VALU_DEP_2)
	v_add_nc_u32_e32 v132, v132, v135
	v_xor_b32_e32 v134, 1, v134
	s_delay_alu instid0(VALU_DEP_2) | instskip(NEXT) | instid1(VALU_DEP_1)
	v_and_b32_e32 v96, 0x1fffff, v132
	v_add_nc_u32_e32 v132, v96, v135
                                        ; implicit-def: $vgpr96
	s_delay_alu instid0(VALU_DEP_3)
	v_cmpx_ne_u32_e64 v133, v134
	s_xor_b32 s8, exec_lo, s8
; %bb.683:                              ;   in Loop: Header=BB2_530 Depth=2
	s_delay_alu instid0(VALU_DEP_2) | instskip(SKIP_2) | instid1(VALU_DEP_2)
	v_cmp_lt_u32_e32 vcc_lo, 0xffffff, v132
	v_sub_nc_u32_e32 v96, v133, v134
	v_cndmask_b32_e64 v133, 0, 1, vcc_lo
	v_add_co_ci_u32_e32 v96, vcc_lo, 0, v96, vcc_lo
	s_delay_alu instid0(VALU_DEP_2)
	v_lshrrev_b32_e32 v132, v133, v132
; %bb.684:                              ;   in Loop: Header=BB2_530 Depth=2
	s_and_not1_saveexec_b32 s8, s8
; %bb.685:                              ;   in Loop: Header=BB2_530 Depth=2
	s_delay_alu instid0(VALU_DEP_1)
	v_bfe_u32 v96, v132, 23, 1
; %bb.686:                              ;   in Loop: Header=BB2_530 Depth=2
	s_or_b32 exec_lo, exec_lo, s8
	v_lshrrev_b32_e32 v132, 21, v132
	s_delay_alu instid0(VALU_DEP_2) | instskip(SKIP_2) | instid1(VALU_DEP_4)
	v_cmp_gt_i32_e32 vcc_lo, 32, v96
	v_lshrrev_b32_e32 v18, 24, v18
	v_min_i32_e32 v133, 31, v96
	v_cndmask_b32_e32 v132, 3, v132, vcc_lo
	s_delay_alu instid0(VALU_DEP_3) | instskip(NEXT) | instid1(VALU_DEP_3)
	v_and_b32_e32 v18, 0x80, v18
	v_lshlrev_b32_e32 v133, 2, v133
	s_delay_alu instid0(VALU_DEP_3) | instskip(SKIP_1) | instid1(VALU_DEP_2)
	v_and_b32_e32 v134, 3, v132
	v_or_b32_e32 v96, v96, v132
	v_or3_b32 v18, v133, v18, v134
	s_delay_alu instid0(VALU_DEP_2) | instskip(NEXT) | instid1(VALU_DEP_2)
	v_cmp_ne_u32_e32 vcc_lo, 0, v96
	v_cndmask_b32_e32 v96, 0, v18, vcc_lo
.LBB2_687:                              ;   in Loop: Header=BB2_530 Depth=2
	s_or_b32 exec_lo, exec_lo, s19
.LBB2_688:                              ;   in Loop: Header=BB2_530 Depth=2
	s_delay_alu instid0(SALU_CYCLE_1) | instskip(SKIP_3) | instid1(SALU_CYCLE_1)
	s_or_b32 exec_lo, exec_lo, s9
	v_lshrrev_b16 v133, 8, v17
	v_lshrrev_b16 v132, 8, v87
                                        ; implicit-def: $vgpr134
	s_and_saveexec_b32 s8, s6
	s_xor_b32 s8, exec_lo, s8
	s_cbranch_execz .LBB2_698
; %bb.689:                              ;   in Loop: Header=BB2_530 Depth=2
	s_mov_b32 s9, 0
	s_mov_b32 s20, exec_lo
                                        ; implicit-def: $sgpr19
	v_cmpx_lt_i16_e64 0x7f, v133
	s_xor_b32 s20, exec_lo, s20
	s_cbranch_execnz .LBB2_870
; %bb.690:                              ;   in Loop: Header=BB2_530 Depth=2
	s_or_saveexec_b32 s20, s20
	v_mov_b32_e32 v18, s19
	s_xor_b32 exec_lo, exec_lo, s20
	s_cbranch_execnz .LBB2_873
.LBB2_691:                              ;   in Loop: Header=BB2_530 Depth=2
	s_or_b32 exec_lo, exec_lo, s20
	s_and_saveexec_b32 s19, s9
	s_cbranch_execz .LBB2_693
.LBB2_692:                              ;   in Loop: Header=BB2_530 Depth=2
	v_and_b32_e32 v18, 0xffff, v133
	v_lshlrev_b32_e32 v17, 16, v17
	s_delay_alu instid0(VALU_DEP_2) | instskip(NEXT) | instid1(VALU_DEP_2)
	v_and_b32_e32 v133, 3, v18
	v_and_b32_e32 v17, 0x80000000, v17
	s_delay_alu instid0(VALU_DEP_2) | instskip(NEXT) | instid1(VALU_DEP_1)
	v_clz_i32_u32_e32 v134, v133
	v_min_u32_e32 v134, 32, v134
	s_delay_alu instid0(VALU_DEP_1) | instskip(SKIP_1) | instid1(VALU_DEP_2)
	v_subrev_nc_u32_e32 v135, 29, v134
	v_sub_nc_u32_e32 v134, 30, v134
	v_lshlrev_b32_e32 v135, v135, v18
	v_bfe_u32 v18, v18, 2, 5
	s_delay_alu instid0(VALU_DEP_1) | instskip(NEXT) | instid1(VALU_DEP_3)
	v_cmp_eq_u32_e32 vcc_lo, 0, v18
	v_dual_cndmask_b32 v18, v18, v134 :: v_dual_and_b32 v135, 3, v135
	s_delay_alu instid0(VALU_DEP_1) | instskip(NEXT) | instid1(VALU_DEP_2)
	v_cndmask_b32_e32 v133, v133, v135, vcc_lo
	v_lshl_add_u32 v18, v18, 23, 0x37800000
	s_delay_alu instid0(VALU_DEP_2) | instskip(NEXT) | instid1(VALU_DEP_1)
	v_lshlrev_b32_e32 v133, 21, v133
	v_or3_b32 v18, v17, v18, v133
.LBB2_693:                              ;   in Loop: Header=BB2_530 Depth=2
	s_or_b32 exec_lo, exec_lo, s19
	s_mov_b32 s9, 0
	s_mov_b32 s20, exec_lo
                                        ; implicit-def: $sgpr19
	v_cmpx_lt_i16_e64 0x7f, v132
	s_xor_b32 s20, exec_lo, s20
	s_cbranch_execnz .LBB2_874
; %bb.694:                              ;   in Loop: Header=BB2_530 Depth=2
	s_or_saveexec_b32 s20, s20
	v_mov_b32_e32 v17, s19
	s_xor_b32 exec_lo, exec_lo, s20
	s_cbranch_execnz .LBB2_877
.LBB2_695:                              ;   in Loop: Header=BB2_530 Depth=2
	s_or_b32 exec_lo, exec_lo, s20
	s_and_saveexec_b32 s19, s9
	s_cbranch_execz .LBB2_697
.LBB2_696:                              ;   in Loop: Header=BB2_530 Depth=2
	v_and_b32_e32 v17, 0xffff, v132
	v_lshlrev_b32_e32 v135, 16, v87
	s_delay_alu instid0(VALU_DEP_2) | instskip(NEXT) | instid1(VALU_DEP_1)
	v_and_b32_e32 v132, 3, v17
	v_clz_i32_u32_e32 v133, v132
	s_delay_alu instid0(VALU_DEP_1) | instskip(NEXT) | instid1(VALU_DEP_1)
	v_min_u32_e32 v133, 32, v133
	v_subrev_nc_u32_e32 v134, 29, v133
	v_sub_nc_u32_e32 v133, 30, v133
	s_delay_alu instid0(VALU_DEP_2) | instskip(SKIP_1) | instid1(VALU_DEP_1)
	v_lshlrev_b32_e32 v134, v134, v17
	v_bfe_u32 v17, v17, 2, 5
	v_cmp_eq_u32_e32 vcc_lo, 0, v17
	s_delay_alu instid0(VALU_DEP_3) | instskip(NEXT) | instid1(VALU_DEP_1)
	v_dual_cndmask_b32 v17, v17, v133 :: v_dual_and_b32 v134, 3, v134
	v_dual_cndmask_b32 v132, v132, v134 :: v_dual_and_b32 v133, 0x80000000, v135
	s_delay_alu instid0(VALU_DEP_2) | instskip(NEXT) | instid1(VALU_DEP_2)
	v_lshl_add_u32 v17, v17, 23, 0x37800000
	v_lshlrev_b32_e32 v132, 21, v132
	s_delay_alu instid0(VALU_DEP_1)
	v_or3_b32 v17, v133, v17, v132
.LBB2_697:                              ;   in Loop: Header=BB2_530 Depth=2
	s_or_b32 exec_lo, exec_lo, s19
	s_delay_alu instid0(VALU_DEP_1) | instskip(NEXT) | instid1(VALU_DEP_1)
	v_dual_max_f32 v17, v17, v17 :: v_dual_max_f32 v18, v18, v18
                                        ; implicit-def: $vgpr132
                                        ; implicit-def: $vgpr133
	v_max_f32_e32 v134, v18, v17
                                        ; implicit-def: $vgpr17_vgpr18
.LBB2_698:                              ;   in Loop: Header=BB2_530 Depth=2
	s_and_not1_saveexec_b32 s8, s8
	s_cbranch_execz .LBB2_708
; %bb.699:                              ;   in Loop: Header=BB2_530 Depth=2
	s_mov_b32 s9, 0
	s_mov_b32 s20, exec_lo
                                        ; implicit-def: $sgpr19
	v_cmpx_lt_i16_e64 0x7f, v133
	s_xor_b32 s20, exec_lo, s20
	s_cbranch_execnz .LBB2_878
; %bb.700:                              ;   in Loop: Header=BB2_530 Depth=2
	s_or_saveexec_b32 s20, s20
	v_mov_b32_e32 v18, s19
	s_xor_b32 exec_lo, exec_lo, s20
	s_cbranch_execnz .LBB2_881
.LBB2_701:                              ;   in Loop: Header=BB2_530 Depth=2
	s_or_b32 exec_lo, exec_lo, s20
	s_and_saveexec_b32 s19, s9
	s_cbranch_execz .LBB2_703
.LBB2_702:                              ;   in Loop: Header=BB2_530 Depth=2
	v_and_b32_e32 v18, 0xffff, v133
	v_lshlrev_b32_e32 v17, 16, v17
	s_delay_alu instid0(VALU_DEP_2) | instskip(NEXT) | instid1(VALU_DEP_2)
	v_and_b32_e32 v133, 3, v18
	v_and_b32_e32 v17, 0x80000000, v17
	s_delay_alu instid0(VALU_DEP_2) | instskip(NEXT) | instid1(VALU_DEP_1)
	v_clz_i32_u32_e32 v134, v133
	v_min_u32_e32 v134, 32, v134
	s_delay_alu instid0(VALU_DEP_1) | instskip(SKIP_1) | instid1(VALU_DEP_2)
	v_subrev_nc_u32_e32 v135, 29, v134
	v_sub_nc_u32_e32 v134, 30, v134
	v_lshlrev_b32_e32 v135, v135, v18
	v_bfe_u32 v18, v18, 2, 5
	s_delay_alu instid0(VALU_DEP_1) | instskip(NEXT) | instid1(VALU_DEP_3)
	v_cmp_eq_u32_e32 vcc_lo, 0, v18
	v_dual_cndmask_b32 v18, v18, v134 :: v_dual_and_b32 v135, 3, v135
	s_delay_alu instid0(VALU_DEP_1) | instskip(NEXT) | instid1(VALU_DEP_2)
	v_cndmask_b32_e32 v133, v133, v135, vcc_lo
	v_lshl_add_u32 v18, v18, 23, 0x37800000
	s_delay_alu instid0(VALU_DEP_2) | instskip(NEXT) | instid1(VALU_DEP_1)
	v_lshlrev_b32_e32 v133, 21, v133
	v_or3_b32 v18, v17, v18, v133
.LBB2_703:                              ;   in Loop: Header=BB2_530 Depth=2
	s_or_b32 exec_lo, exec_lo, s19
	s_mov_b32 s9, 0
	s_mov_b32 s20, exec_lo
                                        ; implicit-def: $sgpr19
	v_cmpx_lt_i16_e64 0x7f, v132
	s_xor_b32 s20, exec_lo, s20
	s_cbranch_execnz .LBB2_882
; %bb.704:                              ;   in Loop: Header=BB2_530 Depth=2
	s_or_saveexec_b32 s20, s20
	v_mov_b32_e32 v17, s19
	s_xor_b32 exec_lo, exec_lo, s20
	s_cbranch_execnz .LBB2_885
.LBB2_705:                              ;   in Loop: Header=BB2_530 Depth=2
	s_or_b32 exec_lo, exec_lo, s20
	s_and_saveexec_b32 s19, s9
	s_cbranch_execz .LBB2_707
.LBB2_706:                              ;   in Loop: Header=BB2_530 Depth=2
	v_and_b32_e32 v17, 0xffff, v132
	v_lshlrev_b32_e32 v135, 16, v87
	s_delay_alu instid0(VALU_DEP_2) | instskip(NEXT) | instid1(VALU_DEP_1)
	v_and_b32_e32 v132, 3, v17
	v_clz_i32_u32_e32 v133, v132
	s_delay_alu instid0(VALU_DEP_1) | instskip(NEXT) | instid1(VALU_DEP_1)
	v_min_u32_e32 v133, 32, v133
	v_subrev_nc_u32_e32 v134, 29, v133
	v_sub_nc_u32_e32 v133, 30, v133
	s_delay_alu instid0(VALU_DEP_2) | instskip(SKIP_1) | instid1(VALU_DEP_1)
	v_lshlrev_b32_e32 v134, v134, v17
	v_bfe_u32 v17, v17, 2, 5
	v_cmp_eq_u32_e32 vcc_lo, 0, v17
	s_delay_alu instid0(VALU_DEP_3) | instskip(NEXT) | instid1(VALU_DEP_1)
	v_dual_cndmask_b32 v17, v17, v133 :: v_dual_and_b32 v134, 3, v134
	v_dual_cndmask_b32 v132, v132, v134 :: v_dual_and_b32 v133, 0x80000000, v135
	s_delay_alu instid0(VALU_DEP_2) | instskip(NEXT) | instid1(VALU_DEP_2)
	v_lshl_add_u32 v17, v17, 23, 0x37800000
	v_lshlrev_b32_e32 v132, 21, v132
	s_delay_alu instid0(VALU_DEP_1)
	v_or3_b32 v17, v133, v17, v132
.LBB2_707:                              ;   in Loop: Header=BB2_530 Depth=2
	s_or_b32 exec_lo, exec_lo, s19
	s_delay_alu instid0(VALU_DEP_1) | instskip(NEXT) | instid1(VALU_DEP_1)
	v_dual_max_f32 v17, v17, v17 :: v_dual_max_f32 v18, v18, v18
	v_min_f32_e32 v134, v18, v17
.LBB2_708:                              ;   in Loop: Header=BB2_530 Depth=2
	s_or_b32 exec_lo, exec_lo, s8
	s_delay_alu instid0(VALU_DEP_1) | instskip(NEXT) | instid1(VALU_DEP_1)
	v_and_b32_e32 v17, 0x7f800000, v134
	v_cmp_ne_u32_e32 vcc_lo, 0x7f800000, v17
	v_mov_b32_e32 v17, 0x80
	s_and_saveexec_b32 s9, vcc_lo
	s_cbranch_execz .LBB2_716
; %bb.709:                              ;   in Loop: Header=BB2_530 Depth=2
	v_mov_b32_e32 v17, 0
	s_mov_b32 s19, exec_lo
	v_cmpx_ne_u32_e32 0, v134
	s_cbranch_execz .LBB2_715
; %bb.710:                              ;   in Loop: Header=BB2_530 Depth=2
	v_bfe_u32 v17, v134, 23, 8
	v_and_b32_e32 v18, 0x7fffff, v134
	s_delay_alu instid0(VALU_DEP_2) | instskip(SKIP_1) | instid1(VALU_DEP_3)
	v_sub_nc_u32_e32 v132, 0x70, v17
	v_cmp_gt_u32_e32 vcc_lo, 0x71, v17
	v_or_b32_e32 v133, 0x800000, v18
	s_delay_alu instid0(VALU_DEP_3) | instskip(SKIP_2) | instid1(VALU_DEP_3)
	v_cndmask_b32_e32 v132, 0, v132, vcc_lo
	v_cmp_eq_u32_e32 vcc_lo, 0, v17
	v_add_nc_u32_e32 v17, 0xffffff91, v17
	v_cndmask_b32_e64 v132, v132, 0x6f, vcc_lo
	v_cndmask_b32_e32 v18, v133, v18, vcc_lo
	s_delay_alu instid0(VALU_DEP_3) | instskip(NEXT) | instid1(VALU_DEP_3)
	v_cndmask_b32_e64 v17, v17, 0xffffff92, vcc_lo
	v_lshl_add_u32 v133, 0x200000, v132, -1
	s_delay_alu instid0(VALU_DEP_3) | instskip(SKIP_1) | instid1(VALU_DEP_4)
	v_lshrrev_b32_e32 v135, v132, v18
	v_lshlrev_b32_e64 v145, v132, 0x100000
	v_add_nc_u32_e32 v132, v132, v17
	s_delay_alu instid0(VALU_DEP_4) | instskip(NEXT) | instid1(VALU_DEP_4)
	v_and_b32_e32 v18, v133, v18
	v_bfe_u32 v144, v135, 21, 1
	s_delay_alu instid0(VALU_DEP_2) | instskip(NEXT) | instid1(VALU_DEP_2)
	v_cmp_eq_u32_e64 s8, v18, v145
	v_add_nc_u32_e32 v133, -1, v144
	s_delay_alu instid0(VALU_DEP_1) | instskip(SKIP_2) | instid1(VALU_DEP_2)
	v_cndmask_b32_e64 v18, 0, v133, s8
	v_lshrrev_b32_e32 v133, 23, v135
	s_mov_b32 s8, exec_lo
	v_add_nc_u32_e32 v18, v18, v135
	s_delay_alu instid0(VALU_DEP_2) | instskip(NEXT) | instid1(VALU_DEP_2)
	v_xor_b32_e32 v133, 1, v133
	v_and_b32_e32 v17, 0x1fffff, v18
	s_delay_alu instid0(VALU_DEP_1) | instskip(NEXT) | instid1(VALU_DEP_3)
	v_add_nc_u32_e32 v18, v17, v135
                                        ; implicit-def: $vgpr17
	v_cmpx_ne_u32_e64 v132, v133
	s_xor_b32 s8, exec_lo, s8
; %bb.711:                              ;   in Loop: Header=BB2_530 Depth=2
	s_delay_alu instid0(VALU_DEP_2) | instskip(SKIP_2) | instid1(VALU_DEP_2)
	v_cmp_lt_u32_e32 vcc_lo, 0xffffff, v18
	v_sub_nc_u32_e32 v17, v132, v133
	v_cndmask_b32_e64 v132, 0, 1, vcc_lo
	v_add_co_ci_u32_e32 v17, vcc_lo, 0, v17, vcc_lo
	s_delay_alu instid0(VALU_DEP_2)
	v_lshrrev_b32_e32 v18, v132, v18
; %bb.712:                              ;   in Loop: Header=BB2_530 Depth=2
	s_and_not1_saveexec_b32 s8, s8
; %bb.713:                              ;   in Loop: Header=BB2_530 Depth=2
	s_delay_alu instid0(VALU_DEP_1)
	v_bfe_u32 v17, v18, 23, 1
; %bb.714:                              ;   in Loop: Header=BB2_530 Depth=2
	s_or_b32 exec_lo, exec_lo, s8
	v_lshrrev_b32_e32 v18, 21, v18
	s_delay_alu instid0(VALU_DEP_2) | instskip(SKIP_2) | instid1(VALU_DEP_2)
	v_cmp_gt_i32_e32 vcc_lo, 32, v17
	v_min_i32_e32 v133, 31, v17
	v_lshrrev_b32_e32 v132, 24, v134
	v_dual_cndmask_b32 v18, 3, v18 :: v_dual_lshlrev_b32 v133, 2, v133
	s_delay_alu instid0(VALU_DEP_1) | instskip(SKIP_1) | instid1(VALU_DEP_2)
	v_or_b32_e32 v17, v17, v18
	v_and_b32_e32 v134, 3, v18
	v_cmp_ne_u32_e32 vcc_lo, 0, v17
	v_and_b32_e32 v132, 0x80, v132
	s_delay_alu instid0(VALU_DEP_1) | instskip(NEXT) | instid1(VALU_DEP_1)
	v_or3_b32 v18, v133, v132, v134
	v_cndmask_b32_e32 v17, 0, v18, vcc_lo
.LBB2_715:                              ;   in Loop: Header=BB2_530 Depth=2
	s_or_b32 exec_lo, exec_lo, s19
.LBB2_716:                              ;   in Loop: Header=BB2_530 Depth=2
	s_delay_alu instid0(SALU_CYCLE_1) | instskip(SKIP_3) | instid1(SALU_CYCLE_1)
	s_or_b32 exec_lo, exec_lo, s9
	v_lshrrev_b32_e32 v132, 16, v19
	v_lshrrev_b32_e32 v18, 16, v87
                                        ; implicit-def: $vgpr133
	s_and_saveexec_b32 s8, s6
	s_xor_b32 s8, exec_lo, s8
	s_cbranch_execz .LBB2_726
; %bb.717:                              ;   in Loop: Header=BB2_530 Depth=2
	v_and_b32_e32 v134, 0xff, v132
	s_mov_b32 s9, 0
	s_mov_b32 s20, exec_lo
                                        ; implicit-def: $sgpr19
	s_delay_alu instid0(VALU_DEP_1)
	v_cmpx_lt_i16_e64 0x7f, v134
	s_xor_b32 s20, exec_lo, s20
	s_cbranch_execnz .LBB2_886
; %bb.718:                              ;   in Loop: Header=BB2_530 Depth=2
	s_or_saveexec_b32 s20, s20
	v_mov_b32_e32 v133, s19
	s_xor_b32 exec_lo, exec_lo, s20
	s_cbranch_execnz .LBB2_889
.LBB2_719:                              ;   in Loop: Header=BB2_530 Depth=2
	s_or_b32 exec_lo, exec_lo, s20
	s_and_saveexec_b32 s19, s9
	s_cbranch_execz .LBB2_721
.LBB2_720:                              ;   in Loop: Header=BB2_530 Depth=2
	v_bfe_u32 v133, v19, 16, 2
	v_bfe_u32 v144, v19, 18, 5
	s_delay_alu instid0(VALU_DEP_2) | instskip(NEXT) | instid1(VALU_DEP_2)
	v_clz_i32_u32_e32 v134, v133
	v_cmp_eq_u32_e32 vcc_lo, 0, v144
	s_delay_alu instid0(VALU_DEP_2) | instskip(NEXT) | instid1(VALU_DEP_1)
	v_min_u32_e32 v134, 32, v134
	v_subrev_nc_u32_e32 v135, 29, v134
	v_sub_nc_u32_e32 v134, 30, v134
	s_delay_alu instid0(VALU_DEP_1) | instskip(NEXT) | instid1(VALU_DEP_1)
	v_dual_cndmask_b32 v134, v144, v134 :: v_dual_lshlrev_b32 v135, v135, v132
	v_and_b32_e32 v135, 3, v135
	v_lshlrev_b32_e32 v132, 24, v132
	s_delay_alu instid0(VALU_DEP_3) | instskip(NEXT) | instid1(VALU_DEP_2)
	v_lshl_add_u32 v134, v134, 23, 0x37800000
	v_dual_cndmask_b32 v133, v133, v135 :: v_dual_and_b32 v132, 0x80000000, v132
	s_delay_alu instid0(VALU_DEP_1) | instskip(NEXT) | instid1(VALU_DEP_1)
	v_lshlrev_b32_e32 v133, 21, v133
	v_or3_b32 v133, v132, v134, v133
.LBB2_721:                              ;   in Loop: Header=BB2_530 Depth=2
	s_or_b32 exec_lo, exec_lo, s19
	v_and_b32_e32 v134, 0xff, v18
	s_mov_b32 s9, 0
	s_mov_b32 s20, exec_lo
                                        ; implicit-def: $sgpr19
	s_delay_alu instid0(VALU_DEP_1)
	v_cmpx_lt_i16_e64 0x7f, v134
	s_xor_b32 s20, exec_lo, s20
	s_cbranch_execnz .LBB2_890
; %bb.722:                              ;   in Loop: Header=BB2_530 Depth=2
	s_or_saveexec_b32 s20, s20
	v_mov_b32_e32 v132, s19
	s_xor_b32 exec_lo, exec_lo, s20
	s_cbranch_execnz .LBB2_893
.LBB2_723:                              ;   in Loop: Header=BB2_530 Depth=2
	s_or_b32 exec_lo, exec_lo, s20
	s_and_saveexec_b32 s19, s9
	s_cbranch_execz .LBB2_725
.LBB2_724:                              ;   in Loop: Header=BB2_530 Depth=2
	v_bfe_u32 v132, v87, 16, 2
	v_bfe_u32 v144, v87, 18, 5
	s_delay_alu instid0(VALU_DEP_2) | instskip(NEXT) | instid1(VALU_DEP_2)
	v_clz_i32_u32_e32 v134, v132
	v_cmp_eq_u32_e32 vcc_lo, 0, v144
	s_delay_alu instid0(VALU_DEP_2) | instskip(NEXT) | instid1(VALU_DEP_1)
	v_min_u32_e32 v134, 32, v134
	v_subrev_nc_u32_e32 v135, 29, v134
	v_sub_nc_u32_e32 v134, 30, v134
	s_delay_alu instid0(VALU_DEP_2) | instskip(SKIP_1) | instid1(VALU_DEP_2)
	v_lshlrev_b32_e32 v135, v135, v18
	v_lshlrev_b32_e32 v18, 24, v18
	v_dual_cndmask_b32 v134, v144, v134 :: v_dual_and_b32 v135, 3, v135
	s_delay_alu instid0(VALU_DEP_2) | instskip(NEXT) | instid1(VALU_DEP_2)
	v_and_b32_e32 v18, 0x80000000, v18
	v_lshl_add_u32 v134, v134, 23, 0x37800000
	s_delay_alu instid0(VALU_DEP_3) | instskip(NEXT) | instid1(VALU_DEP_1)
	v_cndmask_b32_e32 v132, v132, v135, vcc_lo
	v_lshlrev_b32_e32 v132, 21, v132
	s_delay_alu instid0(VALU_DEP_1)
	v_or3_b32 v132, v18, v134, v132
.LBB2_725:                              ;   in Loop: Header=BB2_530 Depth=2
	s_or_b32 exec_lo, exec_lo, s19
	s_delay_alu instid0(VALU_DEP_1) | instskip(SKIP_1) | instid1(VALU_DEP_1)
	v_max_f32_e32 v18, v132, v132
	v_max_f32_e32 v132, v133, v133
	;; [unrolled: 1-line block ×3, first 2 shown]
                                        ; implicit-def: $vgpr18
                                        ; implicit-def: $vgpr132
.LBB2_726:                              ;   in Loop: Header=BB2_530 Depth=2
	s_and_not1_saveexec_b32 s8, s8
	s_cbranch_execz .LBB2_736
; %bb.727:                              ;   in Loop: Header=BB2_530 Depth=2
	v_and_b32_e32 v134, 0xff, v132
	s_mov_b32 s9, 0
	s_mov_b32 s20, exec_lo
                                        ; implicit-def: $sgpr19
	s_delay_alu instid0(VALU_DEP_1)
	v_cmpx_lt_i16_e64 0x7f, v134
	s_xor_b32 s20, exec_lo, s20
	s_cbranch_execnz .LBB2_894
; %bb.728:                              ;   in Loop: Header=BB2_530 Depth=2
	s_or_saveexec_b32 s20, s20
	v_mov_b32_e32 v133, s19
	s_xor_b32 exec_lo, exec_lo, s20
	s_cbranch_execnz .LBB2_897
.LBB2_729:                              ;   in Loop: Header=BB2_530 Depth=2
	s_or_b32 exec_lo, exec_lo, s20
	s_and_saveexec_b32 s19, s9
	s_cbranch_execz .LBB2_731
.LBB2_730:                              ;   in Loop: Header=BB2_530 Depth=2
	v_bfe_u32 v133, v19, 16, 2
	v_bfe_u32 v144, v19, 18, 5
	s_delay_alu instid0(VALU_DEP_2) | instskip(NEXT) | instid1(VALU_DEP_2)
	v_clz_i32_u32_e32 v134, v133
	v_cmp_eq_u32_e32 vcc_lo, 0, v144
	s_delay_alu instid0(VALU_DEP_2) | instskip(NEXT) | instid1(VALU_DEP_1)
	v_min_u32_e32 v134, 32, v134
	v_subrev_nc_u32_e32 v135, 29, v134
	v_sub_nc_u32_e32 v134, 30, v134
	s_delay_alu instid0(VALU_DEP_1) | instskip(NEXT) | instid1(VALU_DEP_1)
	v_dual_cndmask_b32 v134, v144, v134 :: v_dual_lshlrev_b32 v135, v135, v132
	v_and_b32_e32 v135, 3, v135
	v_lshlrev_b32_e32 v132, 24, v132
	s_delay_alu instid0(VALU_DEP_3) | instskip(NEXT) | instid1(VALU_DEP_2)
	v_lshl_add_u32 v134, v134, 23, 0x37800000
	v_dual_cndmask_b32 v133, v133, v135 :: v_dual_and_b32 v132, 0x80000000, v132
	s_delay_alu instid0(VALU_DEP_1) | instskip(NEXT) | instid1(VALU_DEP_1)
	v_lshlrev_b32_e32 v133, 21, v133
	v_or3_b32 v133, v132, v134, v133
.LBB2_731:                              ;   in Loop: Header=BB2_530 Depth=2
	s_or_b32 exec_lo, exec_lo, s19
	v_and_b32_e32 v134, 0xff, v18
	s_mov_b32 s9, 0
	s_mov_b32 s20, exec_lo
                                        ; implicit-def: $sgpr19
	s_delay_alu instid0(VALU_DEP_1)
	v_cmpx_lt_i16_e64 0x7f, v134
	s_xor_b32 s20, exec_lo, s20
	s_cbranch_execnz .LBB2_898
; %bb.732:                              ;   in Loop: Header=BB2_530 Depth=2
	s_or_saveexec_b32 s20, s20
	v_mov_b32_e32 v132, s19
	s_xor_b32 exec_lo, exec_lo, s20
	s_cbranch_execnz .LBB2_901
.LBB2_733:                              ;   in Loop: Header=BB2_530 Depth=2
	s_or_b32 exec_lo, exec_lo, s20
	s_and_saveexec_b32 s19, s9
	s_cbranch_execz .LBB2_735
.LBB2_734:                              ;   in Loop: Header=BB2_530 Depth=2
	v_bfe_u32 v132, v87, 16, 2
	v_bfe_u32 v144, v87, 18, 5
	s_delay_alu instid0(VALU_DEP_2) | instskip(NEXT) | instid1(VALU_DEP_2)
	v_clz_i32_u32_e32 v134, v132
	v_cmp_eq_u32_e32 vcc_lo, 0, v144
	s_delay_alu instid0(VALU_DEP_2) | instskip(NEXT) | instid1(VALU_DEP_1)
	v_min_u32_e32 v134, 32, v134
	v_subrev_nc_u32_e32 v135, 29, v134
	v_sub_nc_u32_e32 v134, 30, v134
	s_delay_alu instid0(VALU_DEP_2) | instskip(SKIP_1) | instid1(VALU_DEP_2)
	v_lshlrev_b32_e32 v135, v135, v18
	v_lshlrev_b32_e32 v18, 24, v18
	v_dual_cndmask_b32 v134, v144, v134 :: v_dual_and_b32 v135, 3, v135
	s_delay_alu instid0(VALU_DEP_2) | instskip(NEXT) | instid1(VALU_DEP_2)
	v_and_b32_e32 v18, 0x80000000, v18
	v_lshl_add_u32 v134, v134, 23, 0x37800000
	s_delay_alu instid0(VALU_DEP_3) | instskip(NEXT) | instid1(VALU_DEP_1)
	v_cndmask_b32_e32 v132, v132, v135, vcc_lo
	v_lshlrev_b32_e32 v132, 21, v132
	s_delay_alu instid0(VALU_DEP_1)
	v_or3_b32 v132, v18, v134, v132
.LBB2_735:                              ;   in Loop: Header=BB2_530 Depth=2
	s_or_b32 exec_lo, exec_lo, s19
	s_delay_alu instid0(VALU_DEP_1) | instskip(SKIP_1) | instid1(VALU_DEP_1)
	v_max_f32_e32 v18, v132, v132
	v_max_f32_e32 v132, v133, v133
	v_min_f32_e32 v133, v132, v18
.LBB2_736:                              ;   in Loop: Header=BB2_530 Depth=2
	s_or_b32 exec_lo, exec_lo, s8
	s_delay_alu instid0(VALU_DEP_1) | instskip(SKIP_2) | instid1(VALU_DEP_2)
	v_and_b32_e32 v18, 0x7f800000, v133
	v_mov_b32_e32 v132, 0x80
	s_mov_b32 s9, exec_lo
	v_cmpx_ne_u32_e32 0x7f800000, v18
	s_cbranch_execz .LBB2_744
; %bb.737:                              ;   in Loop: Header=BB2_530 Depth=2
	v_mov_b32_e32 v132, 0
	s_mov_b32 s19, exec_lo
	v_cmpx_ne_u32_e32 0, v133
	s_cbranch_execz .LBB2_743
; %bb.738:                              ;   in Loop: Header=BB2_530 Depth=2
	v_bfe_u32 v18, v133, 23, 8
	v_and_b32_e32 v132, 0x7fffff, v133
	s_delay_alu instid0(VALU_DEP_2) | instskip(SKIP_1) | instid1(VALU_DEP_3)
	v_sub_nc_u32_e32 v134, 0x70, v18
	v_cmp_gt_u32_e32 vcc_lo, 0x71, v18
	v_or_b32_e32 v135, 0x800000, v132
	s_delay_alu instid0(VALU_DEP_3) | instskip(SKIP_2) | instid1(VALU_DEP_3)
	v_cndmask_b32_e32 v134, 0, v134, vcc_lo
	v_cmp_eq_u32_e32 vcc_lo, 0, v18
	v_add_nc_u32_e32 v18, 0xffffff91, v18
	v_cndmask_b32_e64 v134, v134, 0x6f, vcc_lo
	v_cndmask_b32_e32 v132, v135, v132, vcc_lo
	s_delay_alu instid0(VALU_DEP_3) | instskip(NEXT) | instid1(VALU_DEP_3)
	v_cndmask_b32_e64 v18, v18, 0xffffff92, vcc_lo
	v_lshl_add_u32 v135, 0x200000, v134, -1
	s_delay_alu instid0(VALU_DEP_3) | instskip(SKIP_1) | instid1(VALU_DEP_4)
	v_lshrrev_b32_e32 v144, v134, v132
	v_lshlrev_b32_e64 v146, v134, 0x100000
	v_add_nc_u32_e32 v134, v134, v18
	s_delay_alu instid0(VALU_DEP_4) | instskip(NEXT) | instid1(VALU_DEP_4)
	v_and_b32_e32 v132, v135, v132
	v_bfe_u32 v145, v144, 21, 1
	s_delay_alu instid0(VALU_DEP_2) | instskip(NEXT) | instid1(VALU_DEP_2)
	v_cmp_eq_u32_e64 s8, v132, v146
	v_add_nc_u32_e32 v135, -1, v145
	s_delay_alu instid0(VALU_DEP_1) | instskip(SKIP_2) | instid1(VALU_DEP_2)
	v_cndmask_b32_e64 v132, 0, v135, s8
	v_lshrrev_b32_e32 v135, 23, v144
	s_mov_b32 s8, exec_lo
	v_add_nc_u32_e32 v132, v132, v144
	s_delay_alu instid0(VALU_DEP_2) | instskip(NEXT) | instid1(VALU_DEP_2)
	v_xor_b32_e32 v135, 1, v135
	v_and_b32_e32 v18, 0x1fffff, v132
	s_delay_alu instid0(VALU_DEP_1) | instskip(NEXT) | instid1(VALU_DEP_3)
	v_add_nc_u32_e32 v132, v18, v144
                                        ; implicit-def: $vgpr18
	v_cmpx_ne_u32_e64 v134, v135
	s_xor_b32 s8, exec_lo, s8
; %bb.739:                              ;   in Loop: Header=BB2_530 Depth=2
	s_delay_alu instid0(VALU_DEP_2) | instskip(SKIP_2) | instid1(VALU_DEP_2)
	v_cmp_lt_u32_e32 vcc_lo, 0xffffff, v132
	v_sub_nc_u32_e32 v18, v134, v135
	v_cndmask_b32_e64 v134, 0, 1, vcc_lo
	v_add_co_ci_u32_e32 v18, vcc_lo, 0, v18, vcc_lo
	s_delay_alu instid0(VALU_DEP_2)
	v_lshrrev_b32_e32 v132, v134, v132
; %bb.740:                              ;   in Loop: Header=BB2_530 Depth=2
	s_and_not1_saveexec_b32 s8, s8
; %bb.741:                              ;   in Loop: Header=BB2_530 Depth=2
	s_delay_alu instid0(VALU_DEP_1)
	v_bfe_u32 v18, v132, 23, 1
; %bb.742:                              ;   in Loop: Header=BB2_530 Depth=2
	s_or_b32 exec_lo, exec_lo, s8
	v_lshrrev_b32_e32 v132, 21, v132
	s_delay_alu instid0(VALU_DEP_2) | instskip(SKIP_2) | instid1(VALU_DEP_3)
	v_min_i32_e32 v134, 31, v18
	v_cmp_gt_i32_e32 vcc_lo, 32, v18
	v_lshrrev_b32_e32 v133, 24, v133
	v_lshlrev_b32_e32 v134, 2, v134
	s_delay_alu instid0(VALU_DEP_2) | instskip(NEXT) | instid1(VALU_DEP_2)
	v_dual_cndmask_b32 v132, 3, v132 :: v_dual_and_b32 v133, 0x80, v133
	v_and_b32_e32 v134, 0xfc, v134
	s_delay_alu instid0(VALU_DEP_2) | instskip(SKIP_1) | instid1(VALU_DEP_2)
	v_and_b32_e32 v135, 3, v132
	v_or_b32_e32 v18, v18, v132
	v_or3_b32 v132, v134, v133, v135
	s_delay_alu instid0(VALU_DEP_2) | instskip(NEXT) | instid1(VALU_DEP_2)
	v_cmp_ne_u32_e32 vcc_lo, 0, v18
	v_cndmask_b32_e32 v132, 0, v132, vcc_lo
.LBB2_743:                              ;   in Loop: Header=BB2_530 Depth=2
	s_or_b32 exec_lo, exec_lo, s19
.LBB2_744:                              ;   in Loop: Header=BB2_530 Depth=2
	s_delay_alu instid0(SALU_CYCLE_1) | instskip(SKIP_3) | instid1(SALU_CYCLE_1)
	s_or_b32 exec_lo, exec_lo, s9
	v_lshrrev_b32_e32 v18, 24, v19
	v_lshrrev_b32_e32 v133, 24, v87
                                        ; implicit-def: $vgpr134
	s_and_saveexec_b32 s8, s6
	s_xor_b32 s8, exec_lo, s8
	s_cbranch_execz .LBB2_754
; %bb.745:                              ;   in Loop: Header=BB2_530 Depth=2
	s_mov_b32 s9, 0
	s_mov_b32 s20, exec_lo
                                        ; implicit-def: $sgpr19
	v_cmpx_lt_i16_e32 0x7f, v18
	s_xor_b32 s20, exec_lo, s20
	s_cbranch_execnz .LBB2_902
; %bb.746:                              ;   in Loop: Header=BB2_530 Depth=2
	s_or_saveexec_b32 s20, s20
	v_mov_b32_e32 v134, s19
	s_xor_b32 exec_lo, exec_lo, s20
	s_cbranch_execnz .LBB2_905
.LBB2_747:                              ;   in Loop: Header=BB2_530 Depth=2
	s_or_b32 exec_lo, exec_lo, s20
	s_and_saveexec_b32 s19, s9
	s_cbranch_execz .LBB2_749
.LBB2_748:                              ;   in Loop: Header=BB2_530 Depth=2
	v_bfe_u32 v134, v19, 24, 2
	s_delay_alu instid0(VALU_DEP_1) | instskip(NEXT) | instid1(VALU_DEP_1)
	v_clz_i32_u32_e32 v135, v134
	v_min_u32_e32 v135, 32, v135
	s_delay_alu instid0(VALU_DEP_1) | instskip(SKIP_1) | instid1(VALU_DEP_2)
	v_subrev_nc_u32_e32 v144, 29, v135
	v_sub_nc_u32_e32 v135, 30, v135
	v_lshlrev_b32_e32 v18, v144, v18
	v_bfe_u32 v144, v19, 26, 5
	v_and_b32_e32 v19, 0x80000000, v19
	s_delay_alu instid0(VALU_DEP_2) | instskip(NEXT) | instid1(VALU_DEP_4)
	v_cmp_eq_u32_e32 vcc_lo, 0, v144
	v_dual_cndmask_b32 v135, v144, v135 :: v_dual_and_b32 v18, 3, v18
	s_delay_alu instid0(VALU_DEP_1) | instskip(NEXT) | instid1(VALU_DEP_2)
	v_cndmask_b32_e32 v18, v134, v18, vcc_lo
	v_lshl_add_u32 v134, v135, 23, 0x37800000
	s_delay_alu instid0(VALU_DEP_2) | instskip(NEXT) | instid1(VALU_DEP_1)
	v_lshlrev_b32_e32 v18, 21, v18
	v_or3_b32 v134, v19, v134, v18
.LBB2_749:                              ;   in Loop: Header=BB2_530 Depth=2
	s_or_b32 exec_lo, exec_lo, s19
	s_mov_b32 s9, 0
	s_mov_b32 s20, exec_lo
                                        ; implicit-def: $sgpr19
	v_cmpx_lt_i16_e64 0x7f, v133
	s_xor_b32 s20, exec_lo, s20
	s_cbranch_execnz .LBB2_906
; %bb.750:                              ;   in Loop: Header=BB2_530 Depth=2
	s_or_saveexec_b32 s20, s20
	v_mov_b32_e32 v18, s19
	s_xor_b32 exec_lo, exec_lo, s20
	s_cbranch_execnz .LBB2_909
.LBB2_751:                              ;   in Loop: Header=BB2_530 Depth=2
	s_or_b32 exec_lo, exec_lo, s20
	s_and_saveexec_b32 s19, s9
	s_cbranch_execz .LBB2_753
.LBB2_752:                              ;   in Loop: Header=BB2_530 Depth=2
	v_bfe_u32 v18, v87, 24, 2
	s_delay_alu instid0(VALU_DEP_1) | instskip(NEXT) | instid1(VALU_DEP_1)
	v_clz_i32_u32_e32 v19, v18
	v_min_u32_e32 v19, 32, v19
	s_delay_alu instid0(VALU_DEP_1) | instskip(SKIP_1) | instid1(VALU_DEP_2)
	v_subrev_nc_u32_e32 v135, 29, v19
	v_sub_nc_u32_e32 v19, 30, v19
	v_lshlrev_b32_e32 v133, v135, v133
	v_bfe_u32 v135, v87, 26, 5
	v_and_b32_e32 v87, 0x80000000, v87
	s_delay_alu instid0(VALU_DEP_3) | instskip(NEXT) | instid1(VALU_DEP_3)
	v_and_b32_e32 v133, 3, v133
	v_cmp_eq_u32_e32 vcc_lo, 0, v135
	s_delay_alu instid0(VALU_DEP_2) | instskip(NEXT) | instid1(VALU_DEP_1)
	v_dual_cndmask_b32 v19, v135, v19 :: v_dual_cndmask_b32 v18, v18, v133
	v_lshl_add_u32 v19, v19, 23, 0x37800000
	s_delay_alu instid0(VALU_DEP_2) | instskip(NEXT) | instid1(VALU_DEP_1)
	v_lshlrev_b32_e32 v18, 21, v18
	v_or3_b32 v18, v87, v19, v18
.LBB2_753:                              ;   in Loop: Header=BB2_530 Depth=2
	s_or_b32 exec_lo, exec_lo, s19
	s_delay_alu instid0(VALU_DEP_1) | instskip(SKIP_1) | instid1(VALU_DEP_1)
	v_max_f32_e32 v18, v18, v18
	v_max_f32_e32 v19, v134, v134
                                        ; implicit-def: $vgpr87
                                        ; implicit-def: $vgpr133
	v_max_f32_e32 v134, v19, v18
                                        ; implicit-def: $vgpr18_vgpr19
                                        ; implicit-def: $vgpr18
.LBB2_754:                              ;   in Loop: Header=BB2_530 Depth=2
	s_and_not1_saveexec_b32 s8, s8
	s_cbranch_execz .LBB2_764
; %bb.755:                              ;   in Loop: Header=BB2_530 Depth=2
	s_mov_b32 s9, 0
	s_mov_b32 s20, exec_lo
                                        ; implicit-def: $sgpr19
	v_cmpx_lt_i16_e32 0x7f, v18
	s_xor_b32 s20, exec_lo, s20
	s_cbranch_execnz .LBB2_910
; %bb.756:                              ;   in Loop: Header=BB2_530 Depth=2
	s_or_saveexec_b32 s20, s20
	v_mov_b32_e32 v134, s19
	s_xor_b32 exec_lo, exec_lo, s20
	s_cbranch_execnz .LBB2_913
.LBB2_757:                              ;   in Loop: Header=BB2_530 Depth=2
	s_or_b32 exec_lo, exec_lo, s20
	s_and_saveexec_b32 s19, s9
	s_cbranch_execz .LBB2_759
.LBB2_758:                              ;   in Loop: Header=BB2_530 Depth=2
	v_bfe_u32 v134, v19, 24, 2
	s_delay_alu instid0(VALU_DEP_1) | instskip(NEXT) | instid1(VALU_DEP_1)
	v_clz_i32_u32_e32 v135, v134
	v_min_u32_e32 v135, 32, v135
	s_delay_alu instid0(VALU_DEP_1) | instskip(SKIP_1) | instid1(VALU_DEP_2)
	v_subrev_nc_u32_e32 v144, 29, v135
	v_sub_nc_u32_e32 v135, 30, v135
	v_lshlrev_b32_e32 v18, v144, v18
	v_bfe_u32 v144, v19, 26, 5
	v_and_b32_e32 v19, 0x80000000, v19
	s_delay_alu instid0(VALU_DEP_2) | instskip(NEXT) | instid1(VALU_DEP_4)
	v_cmp_eq_u32_e32 vcc_lo, 0, v144
	v_dual_cndmask_b32 v135, v144, v135 :: v_dual_and_b32 v18, 3, v18
	s_delay_alu instid0(VALU_DEP_1) | instskip(NEXT) | instid1(VALU_DEP_2)
	v_cndmask_b32_e32 v18, v134, v18, vcc_lo
	v_lshl_add_u32 v134, v135, 23, 0x37800000
	s_delay_alu instid0(VALU_DEP_2) | instskip(NEXT) | instid1(VALU_DEP_1)
	v_lshlrev_b32_e32 v18, 21, v18
	v_or3_b32 v134, v19, v134, v18
.LBB2_759:                              ;   in Loop: Header=BB2_530 Depth=2
	s_or_b32 exec_lo, exec_lo, s19
	s_mov_b32 s9, 0
	s_mov_b32 s20, exec_lo
                                        ; implicit-def: $sgpr19
	v_cmpx_lt_i16_e64 0x7f, v133
	s_xor_b32 s20, exec_lo, s20
	s_cbranch_execnz .LBB2_914
; %bb.760:                              ;   in Loop: Header=BB2_530 Depth=2
	s_or_saveexec_b32 s20, s20
	v_mov_b32_e32 v18, s19
	s_xor_b32 exec_lo, exec_lo, s20
	s_cbranch_execnz .LBB2_917
.LBB2_761:                              ;   in Loop: Header=BB2_530 Depth=2
	s_or_b32 exec_lo, exec_lo, s20
	s_and_saveexec_b32 s19, s9
	s_cbranch_execz .LBB2_763
.LBB2_762:                              ;   in Loop: Header=BB2_530 Depth=2
	v_bfe_u32 v18, v87, 24, 2
	s_delay_alu instid0(VALU_DEP_1) | instskip(NEXT) | instid1(VALU_DEP_1)
	v_clz_i32_u32_e32 v19, v18
	v_min_u32_e32 v19, 32, v19
	s_delay_alu instid0(VALU_DEP_1) | instskip(SKIP_1) | instid1(VALU_DEP_2)
	v_subrev_nc_u32_e32 v135, 29, v19
	v_sub_nc_u32_e32 v19, 30, v19
	v_lshlrev_b32_e32 v133, v135, v133
	v_bfe_u32 v135, v87, 26, 5
	v_and_b32_e32 v87, 0x80000000, v87
	s_delay_alu instid0(VALU_DEP_3) | instskip(NEXT) | instid1(VALU_DEP_3)
	v_and_b32_e32 v133, 3, v133
	v_cmp_eq_u32_e32 vcc_lo, 0, v135
	s_delay_alu instid0(VALU_DEP_2) | instskip(NEXT) | instid1(VALU_DEP_1)
	v_dual_cndmask_b32 v19, v135, v19 :: v_dual_cndmask_b32 v18, v18, v133
	v_lshl_add_u32 v19, v19, 23, 0x37800000
	s_delay_alu instid0(VALU_DEP_2) | instskip(NEXT) | instid1(VALU_DEP_1)
	v_lshlrev_b32_e32 v18, 21, v18
	v_or3_b32 v18, v87, v19, v18
.LBB2_763:                              ;   in Loop: Header=BB2_530 Depth=2
	s_or_b32 exec_lo, exec_lo, s19
	s_delay_alu instid0(VALU_DEP_1) | instskip(SKIP_1) | instid1(VALU_DEP_1)
	v_max_f32_e32 v18, v18, v18
	v_max_f32_e32 v19, v134, v134
	v_min_f32_e32 v134, v19, v18
.LBB2_764:                              ;   in Loop: Header=BB2_530 Depth=2
	s_or_b32 exec_lo, exec_lo, s8
	s_delay_alu instid0(VALU_DEP_1) | instskip(NEXT) | instid1(VALU_DEP_1)
	v_and_b32_e32 v18, 0x7f800000, v134
	v_cmp_ne_u32_e32 vcc_lo, 0x7f800000, v18
	v_mov_b32_e32 v18, 0x8000
	s_and_saveexec_b32 s9, vcc_lo
	s_cbranch_execz .LBB2_772
; %bb.765:                              ;   in Loop: Header=BB2_530 Depth=2
	v_mov_b32_e32 v18, 0
	s_mov_b32 s19, exec_lo
	v_cmpx_ne_u32_e32 0, v134
	s_cbranch_execz .LBB2_771
; %bb.766:                              ;   in Loop: Header=BB2_530 Depth=2
	v_bfe_u32 v18, v134, 23, 8
	v_and_b32_e32 v19, 0x7fffff, v134
	s_delay_alu instid0(VALU_DEP_2) | instskip(SKIP_1) | instid1(VALU_DEP_3)
	v_sub_nc_u32_e32 v87, 0x70, v18
	v_cmp_gt_u32_e32 vcc_lo, 0x71, v18
	v_or_b32_e32 v133, 0x800000, v19
	s_delay_alu instid0(VALU_DEP_3) | instskip(SKIP_2) | instid1(VALU_DEP_3)
	v_cndmask_b32_e32 v87, 0, v87, vcc_lo
	v_cmp_eq_u32_e32 vcc_lo, 0, v18
	v_add_nc_u32_e32 v18, 0xffffff91, v18
	v_cndmask_b32_e64 v87, v87, 0x6f, vcc_lo
	v_cndmask_b32_e32 v19, v133, v19, vcc_lo
	s_delay_alu instid0(VALU_DEP_3) | instskip(NEXT) | instid1(VALU_DEP_3)
	v_cndmask_b32_e64 v18, v18, 0xffffff92, vcc_lo
	v_lshl_add_u32 v133, 0x200000, v87, -1
	s_delay_alu instid0(VALU_DEP_3) | instskip(SKIP_1) | instid1(VALU_DEP_4)
	v_lshrrev_b32_e32 v135, v87, v19
	v_lshlrev_b32_e64 v145, v87, 0x100000
	v_add_nc_u32_e32 v87, v87, v18
	s_delay_alu instid0(VALU_DEP_4) | instskip(NEXT) | instid1(VALU_DEP_4)
	v_and_b32_e32 v19, v133, v19
	v_bfe_u32 v144, v135, 21, 1
	s_delay_alu instid0(VALU_DEP_2) | instskip(NEXT) | instid1(VALU_DEP_2)
	v_cmp_eq_u32_e64 s8, v19, v145
	v_add_nc_u32_e32 v133, -1, v144
	s_delay_alu instid0(VALU_DEP_1) | instskip(SKIP_2) | instid1(VALU_DEP_2)
	v_cndmask_b32_e64 v19, 0, v133, s8
	v_lshrrev_b32_e32 v133, 23, v135
	s_mov_b32 s8, exec_lo
	v_add_nc_u32_e32 v19, v19, v135
	s_delay_alu instid0(VALU_DEP_2) | instskip(NEXT) | instid1(VALU_DEP_2)
	v_xor_b32_e32 v133, 1, v133
	v_and_b32_e32 v18, 0x1fffff, v19
	s_delay_alu instid0(VALU_DEP_1) | instskip(NEXT) | instid1(VALU_DEP_3)
	v_add_nc_u32_e32 v19, v18, v135
                                        ; implicit-def: $vgpr18
	v_cmpx_ne_u32_e64 v87, v133
	s_xor_b32 s8, exec_lo, s8
; %bb.767:                              ;   in Loop: Header=BB2_530 Depth=2
	s_delay_alu instid0(VALU_DEP_2) | instskip(SKIP_2) | instid1(VALU_DEP_2)
	v_cmp_lt_u32_e32 vcc_lo, 0xffffff, v19
	v_sub_nc_u32_e32 v18, v87, v133
	v_cndmask_b32_e64 v87, 0, 1, vcc_lo
	v_add_co_ci_u32_e32 v18, vcc_lo, 0, v18, vcc_lo
	s_delay_alu instid0(VALU_DEP_2)
	v_lshrrev_b32_e32 v19, v87, v19
; %bb.768:                              ;   in Loop: Header=BB2_530 Depth=2
	s_and_not1_saveexec_b32 s8, s8
; %bb.769:                              ;   in Loop: Header=BB2_530 Depth=2
	s_delay_alu instid0(VALU_DEP_1)
	v_bfe_u32 v18, v19, 23, 1
; %bb.770:                              ;   in Loop: Header=BB2_530 Depth=2
	s_or_b32 exec_lo, exec_lo, s8
	v_lshrrev_b32_e32 v19, 21, v19
	s_delay_alu instid0(VALU_DEP_2) | instskip(SKIP_2) | instid1(VALU_DEP_4)
	v_cmp_gt_i32_e32 vcc_lo, 32, v18
	v_min_i32_e32 v87, 31, v18
	v_lshrrev_b32_e32 v133, 24, v134
	v_cndmask_b32_e32 v19, 3, v19, vcc_lo
	s_delay_alu instid0(VALU_DEP_3) | instskip(NEXT) | instid1(VALU_DEP_2)
	v_lshlrev_b32_e32 v87, 2, v87
	v_or_b32_e32 v18, v18, v19
	v_and_b32_e32 v134, 3, v19
	s_delay_alu instid0(VALU_DEP_3) | instskip(NEXT) | instid1(VALU_DEP_3)
	v_and_b32_e32 v87, 0xfc, v87
	v_cmp_ne_u32_e32 vcc_lo, 0, v18
	v_and_b32_e32 v133, 0x80, v133
	s_delay_alu instid0(VALU_DEP_1) | instskip(NEXT) | instid1(VALU_DEP_1)
	v_or3_b32 v87, v133, v87, v134
	v_lshlrev_b32_e32 v19, 8, v87
	s_delay_alu instid0(VALU_DEP_1)
	v_cndmask_b32_e32 v18, 0, v19, vcc_lo
.LBB2_771:                              ;   in Loop: Header=BB2_530 Depth=2
	s_or_b32 exec_lo, exec_lo, s19
.LBB2_772:                              ;   in Loop: Header=BB2_530 Depth=2
	s_delay_alu instid0(SALU_CYCLE_1) | instskip(SKIP_1) | instid1(VALU_DEP_2)
	s_or_b32 exec_lo, exec_lo, s9
	v_cmp_lt_u32_e32 vcc_lo, 7, v131
	v_or_b32_e32 v18, v18, v132
	v_cndmask_b32_e64 v19, 0, 1, vcc_lo
	;;#ASMSTART
	;;#ASMEND
	s_delay_alu instid0(VALU_DEP_1) | instskip(NEXT) | instid1(VALU_DEP_1)
	v_cmp_ne_u32_e64 s8, 0, v19
	s_cmp_lg_u32 s8, exec_lo
	s_mov_b32 s8, -1
	s_cbranch_scc0 .LBB2_788
; %bb.773:                              ;   in Loop: Header=BB2_530 Depth=2
	s_mov_b32 s9, exec_lo
	flat_store_b8 v[70:71], v20
	v_cmpx_ne_u32_e32 1, v131
	s_cbranch_execz .LBB2_775
; %bb.774:                              ;   in Loop: Header=BB2_530 Depth=2
	flat_store_b8 v[70:71], v81 offset:1
.LBB2_775:                              ;   in Loop: Header=BB2_530 Depth=2
	s_or_b32 exec_lo, exec_lo, s9
	s_delay_alu instid0(SALU_CYCLE_1)
	s_mov_b32 s9, exec_lo
	v_cmpx_lt_u32_e32 2, v131
	s_cbranch_execz .LBB2_777
; %bb.776:                              ;   in Loop: Header=BB2_530 Depth=2
	flat_store_b8 v[70:71], v82 offset:2
.LBB2_777:                              ;   in Loop: Header=BB2_530 Depth=2
	s_or_b32 exec_lo, exec_lo, s9
	s_delay_alu instid0(SALU_CYCLE_1)
	s_mov_b32 s9, exec_lo
	v_cmpx_lt_u32_e32 3, v131
	;; [unrolled: 8-line block ×5, first 2 shown]
	s_cbranch_execz .LBB2_785
; %bb.784:                              ;   in Loop: Header=BB2_530 Depth=2
	flat_store_b8 v[70:71], v18 offset:6
.LBB2_785:                              ;   in Loop: Header=BB2_530 Depth=2
	s_or_b32 exec_lo, exec_lo, s9
	s_and_saveexec_b32 s8, vcc_lo
	s_cbranch_execz .LBB2_787
; %bb.786:                              ;   in Loop: Header=BB2_530 Depth=2
	v_lshrrev_b32_e32 v19, 8, v18
	flat_store_b8 v[70:71], v19 offset:7
.LBB2_787:                              ;   in Loop: Header=BB2_530 Depth=2
	s_or_b32 exec_lo, exec_lo, s8
	s_mov_b32 s8, 0
.LBB2_788:                              ;   in Loop: Header=BB2_530 Depth=2
	s_delay_alu instid0(SALU_CYCLE_1)
	s_and_b32 vcc_lo, exec_lo, s8
	s_cbranch_vccz .LBB2_529
; %bb.789:                              ;   in Loop: Header=BB2_530 Depth=2
	v_perm_b32 v19, v97, v82, 0x6050400
	v_lshlrev_b32_e32 v17, 8, v17
	v_lshlrev_b32_e32 v81, 8, v81
	s_delay_alu instid0(VALU_DEP_3) | instskip(NEXT) | instid1(VALU_DEP_3)
	v_perm_b32 v19, v19, v20, 0x5040c00
	v_perm_b32 v20, v17, v96, 0xc0c0500
	s_delay_alu instid0(VALU_DEP_2) | instskip(NEXT) | instid1(VALU_DEP_2)
	v_and_or_b32 v17, 0xff00, v81, v19
	v_lshl_or_b32 v18, v18, 16, v20
	global_store_b64 v[70:71], v[17:18], off
	s_branch .LBB2_529
.LBB2_790:                              ;   in Loop: Header=BB2_530 Depth=2
	s_mov_b32 s9, -1
	s_mov_b32 s21, exec_lo
                                        ; implicit-def: $sgpr19
	v_cmpx_eq_u16_e32 0x80, v81
; %bb.791:                              ;   in Loop: Header=BB2_530 Depth=2
	s_mov_b32 s19, 0x7f800001
	s_xor_b32 s9, exec_lo, -1
; %bb.792:                              ;   in Loop: Header=BB2_530 Depth=2
	s_or_b32 exec_lo, exec_lo, s21
	s_delay_alu instid0(SALU_CYCLE_1)
	s_and_b32 s9, s9, exec_lo
                                        ; implicit-def: $vgpr81
	s_or_saveexec_b32 s20, s20
	v_mov_b32_e32 v20, s19
	s_xor_b32 exec_lo, exec_lo, s20
	s_cbranch_execz .LBB2_551
.LBB2_793:                              ;   in Loop: Header=BB2_530 Depth=2
	v_cmp_ne_u16_e32 vcc_lo, 0, v81
	v_mov_b32_e32 v20, 0
	s_and_not1_b32 s9, s9, exec_lo
	s_and_b32 s19, vcc_lo, exec_lo
	s_delay_alu instid0(SALU_CYCLE_1)
	s_or_b32 s9, s9, s19
	s_or_b32 exec_lo, exec_lo, s20
	s_and_saveexec_b32 s19, s9
	s_cbranch_execnz .LBB2_552
	s_branch .LBB2_553
.LBB2_794:                              ;   in Loop: Header=BB2_530 Depth=2
	s_mov_b32 s9, -1
	s_mov_b32 s21, exec_lo
                                        ; implicit-def: $sgpr19
	v_cmpx_eq_u16_e32 0x80, v82
; %bb.795:                              ;   in Loop: Header=BB2_530 Depth=2
	s_mov_b32 s19, 0x7f800001
	s_xor_b32 s9, exec_lo, -1
; %bb.796:                              ;   in Loop: Header=BB2_530 Depth=2
	s_or_b32 exec_lo, exec_lo, s21
	s_delay_alu instid0(SALU_CYCLE_1)
	s_and_b32 s9, s9, exec_lo
                                        ; implicit-def: $vgpr82
	s_or_saveexec_b32 s20, s20
	v_mov_b32_e32 v81, s19
	s_xor_b32 exec_lo, exec_lo, s20
	s_cbranch_execz .LBB2_555
.LBB2_797:                              ;   in Loop: Header=BB2_530 Depth=2
	v_cmp_ne_u16_e32 vcc_lo, 0, v82
	v_mov_b32_e32 v81, 0
	s_and_not1_b32 s9, s9, exec_lo
	s_and_b32 s19, vcc_lo, exec_lo
	s_delay_alu instid0(SALU_CYCLE_1)
	s_or_b32 s9, s9, s19
	s_or_b32 exec_lo, exec_lo, s20
	s_and_saveexec_b32 s19, s9
	s_cbranch_execnz .LBB2_556
	s_branch .LBB2_557
.LBB2_798:                              ;   in Loop: Header=BB2_530 Depth=2
	s_mov_b32 s9, -1
	s_mov_b32 s21, exec_lo
                                        ; implicit-def: $sgpr19
	v_cmpx_eq_u16_e32 0x80, v81
; %bb.799:                              ;   in Loop: Header=BB2_530 Depth=2
	s_mov_b32 s19, 0x7f800001
	s_xor_b32 s9, exec_lo, -1
; %bb.800:                              ;   in Loop: Header=BB2_530 Depth=2
	s_or_b32 exec_lo, exec_lo, s21
	s_delay_alu instid0(SALU_CYCLE_1)
	s_and_b32 s9, s9, exec_lo
                                        ; implicit-def: $vgpr81
	s_or_saveexec_b32 s20, s20
	v_mov_b32_e32 v20, s19
	s_xor_b32 exec_lo, exec_lo, s20
	s_cbranch_execz .LBB2_561
.LBB2_801:                              ;   in Loop: Header=BB2_530 Depth=2
	v_cmp_ne_u16_e32 vcc_lo, 0, v81
	v_mov_b32_e32 v20, 0
	s_and_not1_b32 s9, s9, exec_lo
	s_and_b32 s19, vcc_lo, exec_lo
	s_delay_alu instid0(SALU_CYCLE_1)
	s_or_b32 s9, s9, s19
	s_or_b32 exec_lo, exec_lo, s20
	s_and_saveexec_b32 s19, s9
	s_cbranch_execnz .LBB2_562
	s_branch .LBB2_563
.LBB2_802:                              ;   in Loop: Header=BB2_530 Depth=2
	s_mov_b32 s9, -1
	s_mov_b32 s21, exec_lo
                                        ; implicit-def: $sgpr19
	v_cmpx_eq_u16_e32 0x80, v82
; %bb.803:                              ;   in Loop: Header=BB2_530 Depth=2
	s_mov_b32 s19, 0x7f800001
	s_xor_b32 s9, exec_lo, -1
; %bb.804:                              ;   in Loop: Header=BB2_530 Depth=2
	s_or_b32 exec_lo, exec_lo, s21
	s_delay_alu instid0(SALU_CYCLE_1)
	s_and_b32 s9, s9, exec_lo
                                        ; implicit-def: $vgpr82
	s_or_saveexec_b32 s20, s20
	v_mov_b32_e32 v81, s19
	s_xor_b32 exec_lo, exec_lo, s20
	s_cbranch_execz .LBB2_565
.LBB2_805:                              ;   in Loop: Header=BB2_530 Depth=2
	v_cmp_ne_u16_e32 vcc_lo, 0, v82
	v_mov_b32_e32 v81, 0
	s_and_not1_b32 s9, s9, exec_lo
	s_and_b32 s19, vcc_lo, exec_lo
	s_delay_alu instid0(SALU_CYCLE_1)
	s_or_b32 s9, s9, s19
	s_or_b32 exec_lo, exec_lo, s20
	s_and_saveexec_b32 s19, s9
	s_cbranch_execnz .LBB2_566
	s_branch .LBB2_567
.LBB2_806:                              ;   in Loop: Header=BB2_530 Depth=2
	s_mov_b32 s9, -1
	s_mov_b32 s21, exec_lo
                                        ; implicit-def: $sgpr19
	v_cmpx_eq_u16_e32 0x80, v82
; %bb.807:                              ;   in Loop: Header=BB2_530 Depth=2
	s_mov_b32 s19, 0x7f800001
	s_xor_b32 s9, exec_lo, -1
; %bb.808:                              ;   in Loop: Header=BB2_530 Depth=2
	s_or_b32 exec_lo, exec_lo, s21
	s_delay_alu instid0(SALU_CYCLE_1)
	s_and_b32 s9, s9, exec_lo
	s_or_saveexec_b32 s20, s20
	v_mov_b32_e32 v132, s19
	s_xor_b32 exec_lo, exec_lo, s20
	s_cbranch_execz .LBB2_579
.LBB2_809:                              ;   in Loop: Header=BB2_530 Depth=2
	v_cmp_ne_u16_e32 vcc_lo, 0, v82
	v_mov_b32_e32 v132, 0
	s_and_not1_b32 s9, s9, exec_lo
	s_and_b32 s19, vcc_lo, exec_lo
	s_delay_alu instid0(SALU_CYCLE_1)
	s_or_b32 s9, s9, s19
	s_or_b32 exec_lo, exec_lo, s20
	s_and_saveexec_b32 s19, s9
	s_cbranch_execnz .LBB2_580
	s_branch .LBB2_581
.LBB2_810:                              ;   in Loop: Header=BB2_530 Depth=2
	s_mov_b32 s9, -1
	s_mov_b32 s21, exec_lo
                                        ; implicit-def: $sgpr19
	v_cmpx_eq_u16_e32 0x80, v81
; %bb.811:                              ;   in Loop: Header=BB2_530 Depth=2
	s_mov_b32 s19, 0x7f800001
	s_xor_b32 s9, exec_lo, -1
; %bb.812:                              ;   in Loop: Header=BB2_530 Depth=2
	s_or_b32 exec_lo, exec_lo, s21
	s_delay_alu instid0(SALU_CYCLE_1)
	s_and_b32 s9, s9, exec_lo
	s_or_saveexec_b32 s20, s20
	v_mov_b32_e32 v82, s19
	s_xor_b32 exec_lo, exec_lo, s20
	s_cbranch_execz .LBB2_583
.LBB2_813:                              ;   in Loop: Header=BB2_530 Depth=2
	v_cmp_ne_u16_e32 vcc_lo, 0, v81
	v_mov_b32_e32 v82, 0
	s_and_not1_b32 s9, s9, exec_lo
	s_and_b32 s19, vcc_lo, exec_lo
	s_delay_alu instid0(SALU_CYCLE_1)
	s_or_b32 s9, s9, s19
	s_or_b32 exec_lo, exec_lo, s20
	s_and_saveexec_b32 s19, s9
	s_cbranch_execnz .LBB2_584
	s_branch .LBB2_585
.LBB2_814:                              ;   in Loop: Header=BB2_530 Depth=2
	s_mov_b32 s9, -1
	s_mov_b32 s21, exec_lo
                                        ; implicit-def: $sgpr19
	v_cmpx_eq_u16_e32 0x80, v82
; %bb.815:                              ;   in Loop: Header=BB2_530 Depth=2
	s_mov_b32 s19, 0x7f800001
	s_xor_b32 s9, exec_lo, -1
; %bb.816:                              ;   in Loop: Header=BB2_530 Depth=2
	s_or_b32 exec_lo, exec_lo, s21
	s_delay_alu instid0(SALU_CYCLE_1)
	s_and_b32 s9, s9, exec_lo
	s_or_saveexec_b32 s20, s20
	v_mov_b32_e32 v132, s19
	s_xor_b32 exec_lo, exec_lo, s20
	s_cbranch_execz .LBB2_589
.LBB2_817:                              ;   in Loop: Header=BB2_530 Depth=2
	v_cmp_ne_u16_e32 vcc_lo, 0, v82
	v_mov_b32_e32 v132, 0
	s_and_not1_b32 s9, s9, exec_lo
	s_and_b32 s19, vcc_lo, exec_lo
	s_delay_alu instid0(SALU_CYCLE_1)
	s_or_b32 s9, s9, s19
	s_or_b32 exec_lo, exec_lo, s20
	s_and_saveexec_b32 s19, s9
	s_cbranch_execnz .LBB2_590
	s_branch .LBB2_591
.LBB2_818:                              ;   in Loop: Header=BB2_530 Depth=2
	s_mov_b32 s9, -1
	s_mov_b32 s21, exec_lo
                                        ; implicit-def: $sgpr19
	v_cmpx_eq_u16_e32 0x80, v81
; %bb.819:                              ;   in Loop: Header=BB2_530 Depth=2
	s_mov_b32 s19, 0x7f800001
	s_xor_b32 s9, exec_lo, -1
; %bb.820:                              ;   in Loop: Header=BB2_530 Depth=2
	s_or_b32 exec_lo, exec_lo, s21
	s_delay_alu instid0(SALU_CYCLE_1)
	s_and_b32 s9, s9, exec_lo
	s_or_saveexec_b32 s20, s20
	v_mov_b32_e32 v82, s19
	s_xor_b32 exec_lo, exec_lo, s20
	s_cbranch_execz .LBB2_593
.LBB2_821:                              ;   in Loop: Header=BB2_530 Depth=2
	v_cmp_ne_u16_e32 vcc_lo, 0, v81
	v_mov_b32_e32 v82, 0
	s_and_not1_b32 s9, s9, exec_lo
	s_and_b32 s19, vcc_lo, exec_lo
	s_delay_alu instid0(SALU_CYCLE_1)
	s_or_b32 s9, s9, s19
	s_or_b32 exec_lo, exec_lo, s20
	s_and_saveexec_b32 s19, s9
	s_cbranch_execnz .LBB2_594
	s_branch .LBB2_595
.LBB2_822:                              ;   in Loop: Header=BB2_530 Depth=2
	s_mov_b32 s9, -1
	s_mov_b32 s21, exec_lo
                                        ; implicit-def: $sgpr19
	v_cmpx_eq_u16_e64 0x80, v134
; %bb.823:                              ;   in Loop: Header=BB2_530 Depth=2
	s_mov_b32 s19, 0x7f800001
	s_xor_b32 s9, exec_lo, -1
; %bb.824:                              ;   in Loop: Header=BB2_530 Depth=2
	s_or_b32 exec_lo, exec_lo, s21
	s_delay_alu instid0(SALU_CYCLE_1)
	s_and_b32 s9, s9, exec_lo
                                        ; implicit-def: $vgpr134
	s_or_saveexec_b32 s20, s20
	v_mov_b32_e32 v133, s19
	s_xor_b32 exec_lo, exec_lo, s20
	s_cbranch_execz .LBB2_607
.LBB2_825:                              ;   in Loop: Header=BB2_530 Depth=2
	v_cmp_ne_u16_e64 vcc_lo, 0, v134
	v_mov_b32_e32 v133, 0
	s_and_not1_b32 s9, s9, exec_lo
	s_delay_alu instid0(VALU_DEP_2) | instskip(NEXT) | instid1(SALU_CYCLE_1)
	s_and_b32 s19, vcc_lo, exec_lo
	s_or_b32 s9, s9, s19
	s_or_b32 exec_lo, exec_lo, s20
	s_and_saveexec_b32 s19, s9
	s_cbranch_execnz .LBB2_608
	s_branch .LBB2_609
.LBB2_826:                              ;   in Loop: Header=BB2_530 Depth=2
	s_mov_b32 s9, -1
	s_mov_b32 s21, exec_lo
                                        ; implicit-def: $sgpr19
	v_cmpx_eq_u16_e64 0x80, v134
; %bb.827:                              ;   in Loop: Header=BB2_530 Depth=2
	s_mov_b32 s19, 0x7f800001
	s_xor_b32 s9, exec_lo, -1
; %bb.828:                              ;   in Loop: Header=BB2_530 Depth=2
	s_or_b32 exec_lo, exec_lo, s21
	s_delay_alu instid0(SALU_CYCLE_1)
	s_and_b32 s9, s9, exec_lo
                                        ; implicit-def: $vgpr134
	s_or_saveexec_b32 s20, s20
	v_mov_b32_e32 v132, s19
	s_xor_b32 exec_lo, exec_lo, s20
	s_cbranch_execz .LBB2_611
.LBB2_829:                              ;   in Loop: Header=BB2_530 Depth=2
	v_cmp_ne_u16_e64 vcc_lo, 0, v134
	v_mov_b32_e32 v132, 0
	s_and_not1_b32 s9, s9, exec_lo
	s_delay_alu instid0(VALU_DEP_2) | instskip(NEXT) | instid1(SALU_CYCLE_1)
	s_and_b32 s19, vcc_lo, exec_lo
	s_or_b32 s9, s9, s19
	s_or_b32 exec_lo, exec_lo, s20
	s_and_saveexec_b32 s19, s9
	s_cbranch_execnz .LBB2_612
	s_branch .LBB2_613
.LBB2_830:                              ;   in Loop: Header=BB2_530 Depth=2
	s_mov_b32 s9, -1
	s_mov_b32 s21, exec_lo
                                        ; implicit-def: $sgpr19
	v_cmpx_eq_u16_e64 0x80, v134
; %bb.831:                              ;   in Loop: Header=BB2_530 Depth=2
	s_mov_b32 s19, 0x7f800001
	s_xor_b32 s9, exec_lo, -1
; %bb.832:                              ;   in Loop: Header=BB2_530 Depth=2
	s_or_b32 exec_lo, exec_lo, s21
	s_delay_alu instid0(SALU_CYCLE_1)
	s_and_b32 s9, s9, exec_lo
                                        ; implicit-def: $vgpr134
	s_or_saveexec_b32 s20, s20
	v_mov_b32_e32 v133, s19
	s_xor_b32 exec_lo, exec_lo, s20
	s_cbranch_execz .LBB2_617
.LBB2_833:                              ;   in Loop: Header=BB2_530 Depth=2
	v_cmp_ne_u16_e64 vcc_lo, 0, v134
	v_mov_b32_e32 v133, 0
	s_and_not1_b32 s9, s9, exec_lo
	s_delay_alu instid0(VALU_DEP_2) | instskip(NEXT) | instid1(SALU_CYCLE_1)
	s_and_b32 s19, vcc_lo, exec_lo
	s_or_b32 s9, s9, s19
	s_or_b32 exec_lo, exec_lo, s20
	s_and_saveexec_b32 s19, s9
	s_cbranch_execnz .LBB2_618
	s_branch .LBB2_619
.LBB2_834:                              ;   in Loop: Header=BB2_530 Depth=2
	s_mov_b32 s9, -1
	s_mov_b32 s21, exec_lo
                                        ; implicit-def: $sgpr19
	v_cmpx_eq_u16_e64 0x80, v134
; %bb.835:                              ;   in Loop: Header=BB2_530 Depth=2
	s_mov_b32 s19, 0x7f800001
	s_xor_b32 s9, exec_lo, -1
; %bb.836:                              ;   in Loop: Header=BB2_530 Depth=2
	s_or_b32 exec_lo, exec_lo, s21
	s_delay_alu instid0(SALU_CYCLE_1)
	s_and_b32 s9, s9, exec_lo
                                        ; implicit-def: $vgpr134
	s_or_saveexec_b32 s20, s20
	v_mov_b32_e32 v132, s19
	s_xor_b32 exec_lo, exec_lo, s20
	s_cbranch_execz .LBB2_621
.LBB2_837:                              ;   in Loop: Header=BB2_530 Depth=2
	v_cmp_ne_u16_e64 vcc_lo, 0, v134
	v_mov_b32_e32 v132, 0
	s_and_not1_b32 s9, s9, exec_lo
	s_delay_alu instid0(VALU_DEP_2) | instskip(NEXT) | instid1(SALU_CYCLE_1)
	s_and_b32 s19, vcc_lo, exec_lo
	s_or_b32 s9, s9, s19
	s_or_b32 exec_lo, exec_lo, s20
	s_and_saveexec_b32 s19, s9
	s_cbranch_execnz .LBB2_622
	s_branch .LBB2_623
.LBB2_838:                              ;   in Loop: Header=BB2_530 Depth=2
	s_mov_b32 s9, -1
	s_mov_b32 s21, exec_lo
                                        ; implicit-def: $sgpr19
	v_cmpx_eq_u16_e64 0x80, v133
; %bb.839:                              ;   in Loop: Header=BB2_530 Depth=2
	s_mov_b32 s19, 0x7f800001
	s_xor_b32 s9, exec_lo, -1
; %bb.840:                              ;   in Loop: Header=BB2_530 Depth=2
	s_or_b32 exec_lo, exec_lo, s21
	s_delay_alu instid0(SALU_CYCLE_1)
	s_and_b32 s9, s9, exec_lo
	s_or_saveexec_b32 s20, s20
	v_mov_b32_e32 v134, s19
	s_xor_b32 exec_lo, exec_lo, s20
	s_cbranch_execz .LBB2_635
.LBB2_841:                              ;   in Loop: Header=BB2_530 Depth=2
	v_cmp_ne_u16_e64 vcc_lo, 0, v133
	v_mov_b32_e32 v134, 0
	s_and_not1_b32 s9, s9, exec_lo
	s_delay_alu instid0(VALU_DEP_2) | instskip(NEXT) | instid1(SALU_CYCLE_1)
	s_and_b32 s19, vcc_lo, exec_lo
	s_or_b32 s9, s9, s19
	s_or_b32 exec_lo, exec_lo, s20
	s_and_saveexec_b32 s19, s9
	s_cbranch_execnz .LBB2_636
	s_branch .LBB2_637
.LBB2_842:                              ;   in Loop: Header=BB2_530 Depth=2
	s_mov_b32 s9, -1
	s_mov_b32 s21, exec_lo
                                        ; implicit-def: $sgpr19
	v_cmpx_eq_u16_e64 0x80, v132
; %bb.843:                              ;   in Loop: Header=BB2_530 Depth=2
	s_mov_b32 s19, 0x7f800001
	s_xor_b32 s9, exec_lo, -1
; %bb.844:                              ;   in Loop: Header=BB2_530 Depth=2
	s_or_b32 exec_lo, exec_lo, s21
	s_delay_alu instid0(SALU_CYCLE_1)
	s_and_b32 s9, s9, exec_lo
	s_or_saveexec_b32 s20, s20
	v_mov_b32_e32 v17, s19
	s_xor_b32 exec_lo, exec_lo, s20
	s_cbranch_execz .LBB2_639
.LBB2_845:                              ;   in Loop: Header=BB2_530 Depth=2
	v_cmp_ne_u16_e64 vcc_lo, 0, v132
	v_mov_b32_e32 v17, 0
	s_and_not1_b32 s9, s9, exec_lo
	s_delay_alu instid0(VALU_DEP_2) | instskip(NEXT) | instid1(SALU_CYCLE_1)
	s_and_b32 s19, vcc_lo, exec_lo
	s_or_b32 s9, s9, s19
	s_or_b32 exec_lo, exec_lo, s20
	s_and_saveexec_b32 s19, s9
	s_cbranch_execnz .LBB2_640
	s_branch .LBB2_641
.LBB2_846:                              ;   in Loop: Header=BB2_530 Depth=2
	s_mov_b32 s9, -1
	s_mov_b32 s21, exec_lo
                                        ; implicit-def: $sgpr19
	v_cmpx_eq_u16_e64 0x80, v133
; %bb.847:                              ;   in Loop: Header=BB2_530 Depth=2
	s_mov_b32 s19, 0x7f800001
	s_xor_b32 s9, exec_lo, -1
; %bb.848:                              ;   in Loop: Header=BB2_530 Depth=2
	s_or_b32 exec_lo, exec_lo, s21
	s_delay_alu instid0(SALU_CYCLE_1)
	s_and_b32 s9, s9, exec_lo
	s_or_saveexec_b32 s20, s20
	v_mov_b32_e32 v134, s19
	s_xor_b32 exec_lo, exec_lo, s20
	s_cbranch_execz .LBB2_645
.LBB2_849:                              ;   in Loop: Header=BB2_530 Depth=2
	v_cmp_ne_u16_e64 vcc_lo, 0, v133
	v_mov_b32_e32 v134, 0
	s_and_not1_b32 s9, s9, exec_lo
	s_delay_alu instid0(VALU_DEP_2) | instskip(NEXT) | instid1(SALU_CYCLE_1)
	s_and_b32 s19, vcc_lo, exec_lo
	s_or_b32 s9, s9, s19
	s_or_b32 exec_lo, exec_lo, s20
	s_and_saveexec_b32 s19, s9
	s_cbranch_execnz .LBB2_646
	s_branch .LBB2_647
.LBB2_850:                              ;   in Loop: Header=BB2_530 Depth=2
	s_mov_b32 s9, -1
	s_mov_b32 s21, exec_lo
                                        ; implicit-def: $sgpr19
	v_cmpx_eq_u16_e64 0x80, v132
; %bb.851:                              ;   in Loop: Header=BB2_530 Depth=2
	s_mov_b32 s19, 0x7f800001
	s_xor_b32 s9, exec_lo, -1
; %bb.852:                              ;   in Loop: Header=BB2_530 Depth=2
	s_or_b32 exec_lo, exec_lo, s21
	s_delay_alu instid0(SALU_CYCLE_1)
	s_and_b32 s9, s9, exec_lo
	s_or_saveexec_b32 s20, s20
	v_mov_b32_e32 v17, s19
	s_xor_b32 exec_lo, exec_lo, s20
	s_cbranch_execz .LBB2_649
.LBB2_853:                              ;   in Loop: Header=BB2_530 Depth=2
	v_cmp_ne_u16_e64 vcc_lo, 0, v132
	v_mov_b32_e32 v17, 0
	s_and_not1_b32 s9, s9, exec_lo
	s_delay_alu instid0(VALU_DEP_2) | instskip(NEXT) | instid1(SALU_CYCLE_1)
	s_and_b32 s19, vcc_lo, exec_lo
	s_or_b32 s9, s9, s19
	s_or_b32 exec_lo, exec_lo, s20
	s_and_saveexec_b32 s19, s9
	s_cbranch_execnz .LBB2_650
	s_branch .LBB2_651
.LBB2_854:                              ;   in Loop: Header=BB2_530 Depth=2
	s_mov_b32 s9, -1
	s_mov_b32 s21, exec_lo
                                        ; implicit-def: $sgpr19
	v_cmpx_eq_u16_e32 0x80, v18
; %bb.855:                              ;   in Loop: Header=BB2_530 Depth=2
	s_mov_b32 s19, 0x7f800001
	s_xor_b32 s9, exec_lo, -1
; %bb.856:                              ;   in Loop: Header=BB2_530 Depth=2
	s_or_b32 exec_lo, exec_lo, s21
	s_delay_alu instid0(SALU_CYCLE_1)
	s_and_b32 s9, s9, exec_lo
                                        ; implicit-def: $vgpr18
	s_or_saveexec_b32 s20, s20
	v_mov_b32_e32 v17, s19
	s_xor_b32 exec_lo, exec_lo, s20
	s_cbranch_execz .LBB2_663
.LBB2_857:                              ;   in Loop: Header=BB2_530 Depth=2
	v_cmp_ne_u16_e32 vcc_lo, 0, v18
	v_mov_b32_e32 v17, 0
	s_and_not1_b32 s9, s9, exec_lo
	s_and_b32 s19, vcc_lo, exec_lo
	s_delay_alu instid0(SALU_CYCLE_1)
	s_or_b32 s9, s9, s19
	s_or_b32 exec_lo, exec_lo, s20
	s_and_saveexec_b32 s19, s9
	s_cbranch_execnz .LBB2_664
	s_branch .LBB2_665
.LBB2_858:                              ;   in Loop: Header=BB2_530 Depth=2
	s_mov_b32 s9, -1
	s_mov_b32 s21, exec_lo
                                        ; implicit-def: $sgpr19
	v_cmpx_eq_u16_e32 0x80, v96
; %bb.859:                              ;   in Loop: Header=BB2_530 Depth=2
	s_mov_b32 s19, 0x7f800001
	s_xor_b32 s9, exec_lo, -1
; %bb.860:                              ;   in Loop: Header=BB2_530 Depth=2
	s_or_b32 exec_lo, exec_lo, s21
	s_delay_alu instid0(SALU_CYCLE_1)
	s_and_b32 s9, s9, exec_lo
                                        ; implicit-def: $vgpr96
	s_or_saveexec_b32 s20, s20
	v_mov_b32_e32 v18, s19
	s_xor_b32 exec_lo, exec_lo, s20
	s_cbranch_execz .LBB2_667
.LBB2_861:                              ;   in Loop: Header=BB2_530 Depth=2
	v_cmp_ne_u16_e32 vcc_lo, 0, v96
	v_mov_b32_e32 v18, 0
	s_and_not1_b32 s9, s9, exec_lo
	s_and_b32 s19, vcc_lo, exec_lo
	s_delay_alu instid0(SALU_CYCLE_1)
	s_or_b32 s9, s9, s19
	s_or_b32 exec_lo, exec_lo, s20
	s_and_saveexec_b32 s19, s9
	s_cbranch_execnz .LBB2_668
	s_branch .LBB2_669
.LBB2_862:                              ;   in Loop: Header=BB2_530 Depth=2
	s_mov_b32 s9, -1
	s_mov_b32 s21, exec_lo
                                        ; implicit-def: $sgpr19
	v_cmpx_eq_u16_e32 0x80, v18
; %bb.863:                              ;   in Loop: Header=BB2_530 Depth=2
	s_mov_b32 s19, 0x7f800001
	s_xor_b32 s9, exec_lo, -1
; %bb.864:                              ;   in Loop: Header=BB2_530 Depth=2
	s_or_b32 exec_lo, exec_lo, s21
	s_delay_alu instid0(SALU_CYCLE_1)
	s_and_b32 s9, s9, exec_lo
                                        ; implicit-def: $vgpr18
	s_or_saveexec_b32 s20, s20
	v_mov_b32_e32 v17, s19
	s_xor_b32 exec_lo, exec_lo, s20
	s_cbranch_execz .LBB2_673
.LBB2_865:                              ;   in Loop: Header=BB2_530 Depth=2
	v_cmp_ne_u16_e32 vcc_lo, 0, v18
	v_mov_b32_e32 v17, 0
	s_and_not1_b32 s9, s9, exec_lo
	s_and_b32 s19, vcc_lo, exec_lo
	s_delay_alu instid0(SALU_CYCLE_1)
	s_or_b32 s9, s9, s19
	s_or_b32 exec_lo, exec_lo, s20
	s_and_saveexec_b32 s19, s9
	s_cbranch_execnz .LBB2_674
	s_branch .LBB2_675
.LBB2_866:                              ;   in Loop: Header=BB2_530 Depth=2
	s_mov_b32 s9, -1
	s_mov_b32 s21, exec_lo
                                        ; implicit-def: $sgpr19
	v_cmpx_eq_u16_e32 0x80, v96
; %bb.867:                              ;   in Loop: Header=BB2_530 Depth=2
	s_mov_b32 s19, 0x7f800001
	s_xor_b32 s9, exec_lo, -1
; %bb.868:                              ;   in Loop: Header=BB2_530 Depth=2
	s_or_b32 exec_lo, exec_lo, s21
	s_delay_alu instid0(SALU_CYCLE_1)
	s_and_b32 s9, s9, exec_lo
                                        ; implicit-def: $vgpr96
	s_or_saveexec_b32 s20, s20
	v_mov_b32_e32 v18, s19
	s_xor_b32 exec_lo, exec_lo, s20
	s_cbranch_execz .LBB2_677
.LBB2_869:                              ;   in Loop: Header=BB2_530 Depth=2
	v_cmp_ne_u16_e32 vcc_lo, 0, v96
	v_mov_b32_e32 v18, 0
	s_and_not1_b32 s9, s9, exec_lo
	s_and_b32 s19, vcc_lo, exec_lo
	s_delay_alu instid0(SALU_CYCLE_1)
	s_or_b32 s9, s9, s19
	s_or_b32 exec_lo, exec_lo, s20
	s_and_saveexec_b32 s19, s9
	s_cbranch_execnz .LBB2_678
	s_branch .LBB2_679
.LBB2_870:                              ;   in Loop: Header=BB2_530 Depth=2
	s_mov_b32 s9, -1
	s_mov_b32 s21, exec_lo
                                        ; implicit-def: $sgpr19
	v_cmpx_eq_u16_e64 0x80, v133
; %bb.871:                              ;   in Loop: Header=BB2_530 Depth=2
	s_mov_b32 s19, 0x7f800001
	s_xor_b32 s9, exec_lo, -1
; %bb.872:                              ;   in Loop: Header=BB2_530 Depth=2
	s_or_b32 exec_lo, exec_lo, s21
	s_delay_alu instid0(SALU_CYCLE_1)
	s_and_b32 s9, s9, exec_lo
	s_or_saveexec_b32 s20, s20
	v_mov_b32_e32 v18, s19
	s_xor_b32 exec_lo, exec_lo, s20
	s_cbranch_execz .LBB2_691
.LBB2_873:                              ;   in Loop: Header=BB2_530 Depth=2
	v_cmp_ne_u16_e64 vcc_lo, 0, v133
	v_mov_b32_e32 v18, 0
	s_and_not1_b32 s9, s9, exec_lo
	s_delay_alu instid0(VALU_DEP_2) | instskip(NEXT) | instid1(SALU_CYCLE_1)
	s_and_b32 s19, vcc_lo, exec_lo
	s_or_b32 s9, s9, s19
	s_or_b32 exec_lo, exec_lo, s20
	s_and_saveexec_b32 s19, s9
	s_cbranch_execnz .LBB2_692
	s_branch .LBB2_693
.LBB2_874:                              ;   in Loop: Header=BB2_530 Depth=2
	s_mov_b32 s9, -1
	s_mov_b32 s21, exec_lo
                                        ; implicit-def: $sgpr19
	v_cmpx_eq_u16_e64 0x80, v132
; %bb.875:                              ;   in Loop: Header=BB2_530 Depth=2
	s_mov_b32 s19, 0x7f800001
	s_xor_b32 s9, exec_lo, -1
; %bb.876:                              ;   in Loop: Header=BB2_530 Depth=2
	s_or_b32 exec_lo, exec_lo, s21
	s_delay_alu instid0(SALU_CYCLE_1)
	s_and_b32 s9, s9, exec_lo
	s_or_saveexec_b32 s20, s20
	v_mov_b32_e32 v17, s19
	s_xor_b32 exec_lo, exec_lo, s20
	s_cbranch_execz .LBB2_695
.LBB2_877:                              ;   in Loop: Header=BB2_530 Depth=2
	v_cmp_ne_u16_e64 vcc_lo, 0, v132
	v_mov_b32_e32 v17, 0
	s_and_not1_b32 s9, s9, exec_lo
	s_delay_alu instid0(VALU_DEP_2) | instskip(NEXT) | instid1(SALU_CYCLE_1)
	s_and_b32 s19, vcc_lo, exec_lo
	s_or_b32 s9, s9, s19
	s_or_b32 exec_lo, exec_lo, s20
	s_and_saveexec_b32 s19, s9
	s_cbranch_execnz .LBB2_696
	s_branch .LBB2_697
.LBB2_878:                              ;   in Loop: Header=BB2_530 Depth=2
	s_mov_b32 s9, -1
	s_mov_b32 s21, exec_lo
                                        ; implicit-def: $sgpr19
	v_cmpx_eq_u16_e64 0x80, v133
; %bb.879:                              ;   in Loop: Header=BB2_530 Depth=2
	s_mov_b32 s19, 0x7f800001
	s_xor_b32 s9, exec_lo, -1
; %bb.880:                              ;   in Loop: Header=BB2_530 Depth=2
	s_or_b32 exec_lo, exec_lo, s21
	s_delay_alu instid0(SALU_CYCLE_1)
	s_and_b32 s9, s9, exec_lo
	s_or_saveexec_b32 s20, s20
	v_mov_b32_e32 v18, s19
	s_xor_b32 exec_lo, exec_lo, s20
	s_cbranch_execz .LBB2_701
.LBB2_881:                              ;   in Loop: Header=BB2_530 Depth=2
	v_cmp_ne_u16_e64 vcc_lo, 0, v133
	v_mov_b32_e32 v18, 0
	s_and_not1_b32 s9, s9, exec_lo
	s_delay_alu instid0(VALU_DEP_2) | instskip(NEXT) | instid1(SALU_CYCLE_1)
	s_and_b32 s19, vcc_lo, exec_lo
	s_or_b32 s9, s9, s19
	s_or_b32 exec_lo, exec_lo, s20
	s_and_saveexec_b32 s19, s9
	s_cbranch_execnz .LBB2_702
	s_branch .LBB2_703
.LBB2_882:                              ;   in Loop: Header=BB2_530 Depth=2
	s_mov_b32 s9, -1
	s_mov_b32 s21, exec_lo
                                        ; implicit-def: $sgpr19
	v_cmpx_eq_u16_e64 0x80, v132
; %bb.883:                              ;   in Loop: Header=BB2_530 Depth=2
	s_mov_b32 s19, 0x7f800001
	s_xor_b32 s9, exec_lo, -1
; %bb.884:                              ;   in Loop: Header=BB2_530 Depth=2
	s_or_b32 exec_lo, exec_lo, s21
	s_delay_alu instid0(SALU_CYCLE_1)
	s_and_b32 s9, s9, exec_lo
	s_or_saveexec_b32 s20, s20
	v_mov_b32_e32 v17, s19
	s_xor_b32 exec_lo, exec_lo, s20
	s_cbranch_execz .LBB2_705
.LBB2_885:                              ;   in Loop: Header=BB2_530 Depth=2
	v_cmp_ne_u16_e64 vcc_lo, 0, v132
	v_mov_b32_e32 v17, 0
	s_and_not1_b32 s9, s9, exec_lo
	s_delay_alu instid0(VALU_DEP_2) | instskip(NEXT) | instid1(SALU_CYCLE_1)
	s_and_b32 s19, vcc_lo, exec_lo
	s_or_b32 s9, s9, s19
	s_or_b32 exec_lo, exec_lo, s20
	s_and_saveexec_b32 s19, s9
	s_cbranch_execnz .LBB2_706
	s_branch .LBB2_707
.LBB2_886:                              ;   in Loop: Header=BB2_530 Depth=2
	s_mov_b32 s9, -1
	s_mov_b32 s21, exec_lo
                                        ; implicit-def: $sgpr19
	v_cmpx_eq_u16_e64 0x80, v134
; %bb.887:                              ;   in Loop: Header=BB2_530 Depth=2
	s_mov_b32 s19, 0x7f800001
	s_xor_b32 s9, exec_lo, -1
; %bb.888:                              ;   in Loop: Header=BB2_530 Depth=2
	s_or_b32 exec_lo, exec_lo, s21
	s_delay_alu instid0(SALU_CYCLE_1)
	s_and_b32 s9, s9, exec_lo
                                        ; implicit-def: $vgpr134
	s_or_saveexec_b32 s20, s20
	v_mov_b32_e32 v133, s19
	s_xor_b32 exec_lo, exec_lo, s20
	s_cbranch_execz .LBB2_719
.LBB2_889:                              ;   in Loop: Header=BB2_530 Depth=2
	v_cmp_ne_u16_e64 vcc_lo, 0, v134
	v_mov_b32_e32 v133, 0
	s_and_not1_b32 s9, s9, exec_lo
	s_delay_alu instid0(VALU_DEP_2) | instskip(NEXT) | instid1(SALU_CYCLE_1)
	s_and_b32 s19, vcc_lo, exec_lo
	s_or_b32 s9, s9, s19
	s_or_b32 exec_lo, exec_lo, s20
	s_and_saveexec_b32 s19, s9
	s_cbranch_execnz .LBB2_720
	s_branch .LBB2_721
.LBB2_890:                              ;   in Loop: Header=BB2_530 Depth=2
	s_mov_b32 s9, -1
	s_mov_b32 s21, exec_lo
                                        ; implicit-def: $sgpr19
	v_cmpx_eq_u16_e64 0x80, v134
; %bb.891:                              ;   in Loop: Header=BB2_530 Depth=2
	s_mov_b32 s19, 0x7f800001
	s_xor_b32 s9, exec_lo, -1
; %bb.892:                              ;   in Loop: Header=BB2_530 Depth=2
	s_or_b32 exec_lo, exec_lo, s21
	s_delay_alu instid0(SALU_CYCLE_1)
	s_and_b32 s9, s9, exec_lo
                                        ; implicit-def: $vgpr134
	s_or_saveexec_b32 s20, s20
	v_mov_b32_e32 v132, s19
	s_xor_b32 exec_lo, exec_lo, s20
	s_cbranch_execz .LBB2_723
.LBB2_893:                              ;   in Loop: Header=BB2_530 Depth=2
	v_cmp_ne_u16_e64 vcc_lo, 0, v134
	v_mov_b32_e32 v132, 0
	s_and_not1_b32 s9, s9, exec_lo
	s_delay_alu instid0(VALU_DEP_2) | instskip(NEXT) | instid1(SALU_CYCLE_1)
	s_and_b32 s19, vcc_lo, exec_lo
	s_or_b32 s9, s9, s19
	s_or_b32 exec_lo, exec_lo, s20
	s_and_saveexec_b32 s19, s9
	s_cbranch_execnz .LBB2_724
	s_branch .LBB2_725
.LBB2_894:                              ;   in Loop: Header=BB2_530 Depth=2
	s_mov_b32 s9, -1
	s_mov_b32 s21, exec_lo
                                        ; implicit-def: $sgpr19
	v_cmpx_eq_u16_e64 0x80, v134
; %bb.895:                              ;   in Loop: Header=BB2_530 Depth=2
	s_mov_b32 s19, 0x7f800001
	s_xor_b32 s9, exec_lo, -1
; %bb.896:                              ;   in Loop: Header=BB2_530 Depth=2
	s_or_b32 exec_lo, exec_lo, s21
	s_delay_alu instid0(SALU_CYCLE_1)
	s_and_b32 s9, s9, exec_lo
                                        ; implicit-def: $vgpr134
	s_or_saveexec_b32 s20, s20
	v_mov_b32_e32 v133, s19
	s_xor_b32 exec_lo, exec_lo, s20
	s_cbranch_execz .LBB2_729
.LBB2_897:                              ;   in Loop: Header=BB2_530 Depth=2
	v_cmp_ne_u16_e64 vcc_lo, 0, v134
	v_mov_b32_e32 v133, 0
	s_and_not1_b32 s9, s9, exec_lo
	s_delay_alu instid0(VALU_DEP_2) | instskip(NEXT) | instid1(SALU_CYCLE_1)
	s_and_b32 s19, vcc_lo, exec_lo
	s_or_b32 s9, s9, s19
	s_or_b32 exec_lo, exec_lo, s20
	s_and_saveexec_b32 s19, s9
	s_cbranch_execnz .LBB2_730
	s_branch .LBB2_731
.LBB2_898:                              ;   in Loop: Header=BB2_530 Depth=2
	s_mov_b32 s9, -1
	s_mov_b32 s21, exec_lo
                                        ; implicit-def: $sgpr19
	v_cmpx_eq_u16_e64 0x80, v134
; %bb.899:                              ;   in Loop: Header=BB2_530 Depth=2
	s_mov_b32 s19, 0x7f800001
	s_xor_b32 s9, exec_lo, -1
; %bb.900:                              ;   in Loop: Header=BB2_530 Depth=2
	s_or_b32 exec_lo, exec_lo, s21
	s_delay_alu instid0(SALU_CYCLE_1)
	s_and_b32 s9, s9, exec_lo
                                        ; implicit-def: $vgpr134
	s_or_saveexec_b32 s20, s20
	v_mov_b32_e32 v132, s19
	s_xor_b32 exec_lo, exec_lo, s20
	s_cbranch_execz .LBB2_733
.LBB2_901:                              ;   in Loop: Header=BB2_530 Depth=2
	v_cmp_ne_u16_e64 vcc_lo, 0, v134
	v_mov_b32_e32 v132, 0
	s_and_not1_b32 s9, s9, exec_lo
	s_delay_alu instid0(VALU_DEP_2) | instskip(NEXT) | instid1(SALU_CYCLE_1)
	s_and_b32 s19, vcc_lo, exec_lo
	s_or_b32 s9, s9, s19
	s_or_b32 exec_lo, exec_lo, s20
	s_and_saveexec_b32 s19, s9
	s_cbranch_execnz .LBB2_734
	s_branch .LBB2_735
.LBB2_902:                              ;   in Loop: Header=BB2_530 Depth=2
	s_mov_b32 s9, -1
	s_mov_b32 s21, exec_lo
                                        ; implicit-def: $sgpr19
	v_cmpx_eq_u16_e32 0x80, v18
; %bb.903:                              ;   in Loop: Header=BB2_530 Depth=2
	s_mov_b32 s19, 0x7f800001
	s_xor_b32 s9, exec_lo, -1
; %bb.904:                              ;   in Loop: Header=BB2_530 Depth=2
	s_or_b32 exec_lo, exec_lo, s21
	s_delay_alu instid0(SALU_CYCLE_1)
	s_and_b32 s9, s9, exec_lo
	s_or_saveexec_b32 s20, s20
	v_mov_b32_e32 v134, s19
	s_xor_b32 exec_lo, exec_lo, s20
	s_cbranch_execz .LBB2_747
.LBB2_905:                              ;   in Loop: Header=BB2_530 Depth=2
	v_cmp_ne_u16_e32 vcc_lo, 0, v18
	v_mov_b32_e32 v134, 0
	s_and_not1_b32 s9, s9, exec_lo
	s_and_b32 s19, vcc_lo, exec_lo
	s_delay_alu instid0(SALU_CYCLE_1)
	s_or_b32 s9, s9, s19
	s_or_b32 exec_lo, exec_lo, s20
	s_and_saveexec_b32 s19, s9
	s_cbranch_execnz .LBB2_748
	s_branch .LBB2_749
.LBB2_906:                              ;   in Loop: Header=BB2_530 Depth=2
	s_mov_b32 s9, -1
	s_mov_b32 s21, exec_lo
                                        ; implicit-def: $sgpr19
	v_cmpx_eq_u16_e64 0x80, v133
; %bb.907:                              ;   in Loop: Header=BB2_530 Depth=2
	s_mov_b32 s19, 0x7f800001
	s_xor_b32 s9, exec_lo, -1
; %bb.908:                              ;   in Loop: Header=BB2_530 Depth=2
	s_or_b32 exec_lo, exec_lo, s21
	s_delay_alu instid0(SALU_CYCLE_1)
	s_and_b32 s9, s9, exec_lo
	s_or_saveexec_b32 s20, s20
	v_mov_b32_e32 v18, s19
	s_xor_b32 exec_lo, exec_lo, s20
	s_cbranch_execz .LBB2_751
.LBB2_909:                              ;   in Loop: Header=BB2_530 Depth=2
	v_cmp_ne_u16_e64 vcc_lo, 0, v133
	v_mov_b32_e32 v18, 0
	s_and_not1_b32 s9, s9, exec_lo
	s_delay_alu instid0(VALU_DEP_2) | instskip(NEXT) | instid1(SALU_CYCLE_1)
	s_and_b32 s19, vcc_lo, exec_lo
	s_or_b32 s9, s9, s19
	s_or_b32 exec_lo, exec_lo, s20
	s_and_saveexec_b32 s19, s9
	s_cbranch_execnz .LBB2_752
	s_branch .LBB2_753
.LBB2_910:                              ;   in Loop: Header=BB2_530 Depth=2
	s_mov_b32 s9, -1
	s_mov_b32 s21, exec_lo
                                        ; implicit-def: $sgpr19
	v_cmpx_eq_u16_e32 0x80, v18
; %bb.911:                              ;   in Loop: Header=BB2_530 Depth=2
	s_mov_b32 s19, 0x7f800001
	s_xor_b32 s9, exec_lo, -1
; %bb.912:                              ;   in Loop: Header=BB2_530 Depth=2
	s_or_b32 exec_lo, exec_lo, s21
	s_delay_alu instid0(SALU_CYCLE_1)
	s_and_b32 s9, s9, exec_lo
	s_or_saveexec_b32 s20, s20
	v_mov_b32_e32 v134, s19
	s_xor_b32 exec_lo, exec_lo, s20
	s_cbranch_execz .LBB2_757
.LBB2_913:                              ;   in Loop: Header=BB2_530 Depth=2
	v_cmp_ne_u16_e32 vcc_lo, 0, v18
	v_mov_b32_e32 v134, 0
	s_and_not1_b32 s9, s9, exec_lo
	s_and_b32 s19, vcc_lo, exec_lo
	s_delay_alu instid0(SALU_CYCLE_1)
	s_or_b32 s9, s9, s19
	s_or_b32 exec_lo, exec_lo, s20
	s_and_saveexec_b32 s19, s9
	s_cbranch_execnz .LBB2_758
	s_branch .LBB2_759
.LBB2_914:                              ;   in Loop: Header=BB2_530 Depth=2
	s_mov_b32 s9, -1
	s_mov_b32 s21, exec_lo
                                        ; implicit-def: $sgpr19
	v_cmpx_eq_u16_e64 0x80, v133
; %bb.915:                              ;   in Loop: Header=BB2_530 Depth=2
	s_mov_b32 s19, 0x7f800001
	s_xor_b32 s9, exec_lo, -1
; %bb.916:                              ;   in Loop: Header=BB2_530 Depth=2
	s_or_b32 exec_lo, exec_lo, s21
	s_delay_alu instid0(SALU_CYCLE_1)
	s_and_b32 s9, s9, exec_lo
	s_or_saveexec_b32 s20, s20
	v_mov_b32_e32 v18, s19
	s_xor_b32 exec_lo, exec_lo, s20
	s_cbranch_execz .LBB2_761
.LBB2_917:                              ;   in Loop: Header=BB2_530 Depth=2
	v_cmp_ne_u16_e64 vcc_lo, 0, v133
	v_mov_b32_e32 v18, 0
	s_and_not1_b32 s9, s9, exec_lo
	s_delay_alu instid0(VALU_DEP_2) | instskip(NEXT) | instid1(SALU_CYCLE_1)
	s_and_b32 s19, vcc_lo, exec_lo
	s_or_b32 s9, s9, s19
	s_or_b32 exec_lo, exec_lo, s20
	s_and_saveexec_b32 s19, s9
	s_cbranch_execnz .LBB2_762
	s_branch .LBB2_763
.LBB2_918:                              ;   in Loop: Header=BB2_32 Depth=1
	s_or_b32 exec_lo, exec_lo, s18
.LBB2_919:                              ;   in Loop: Header=BB2_32 Depth=1
	s_delay_alu instid0(SALU_CYCLE_1)
	s_or_b32 exec_lo, exec_lo, s10
	s_and_saveexec_b32 s8, s3
	s_cbranch_execz .LBB2_941
; %bb.920:                              ;   in Loop: Header=BB2_32 Depth=1
	s_and_saveexec_b32 s9, s4
	s_delay_alu instid0(SALU_CYCLE_1)
	s_xor_b32 s9, exec_lo, s9
	s_cbranch_execz .LBB2_938
; %bb.921:                              ;   in Loop: Header=BB2_32 Depth=1
	s_and_saveexec_b32 s10, s5
	s_cbranch_execz .LBB2_937
; %bb.922:                              ;   in Loop: Header=BB2_32 Depth=1
	s_mov_b32 s19, exec_lo
	s_mov_b32 s18, exec_lo
	v_mbcnt_lo_u32_b32 v17, s19, 0
	s_waitcnt vmcnt(0) lgkmcnt(0)
	s_waitcnt_vscnt null, 0x0
	buffer_gl1_inv
	buffer_gl0_inv
	v_cmpx_eq_u32_e32 0, v17
	s_cbranch_execz .LBB2_924
; %bb.923:                              ;   in Loop: Header=BB2_32 Depth=1
	s_bcnt1_i32_b32 s19, s19
	s_delay_alu instid0(SALU_CYCLE_1)
	v_mov_b32_e32 v54, s19
	ds_add_u64 v0, v[54:55]
	s_cbranch_execnz .LBB2_1010
.LBB2_924:                              ;   in Loop: Header=BB2_32 Depth=1
	s_or_b32 exec_lo, exec_lo, s18
	s_cbranch_execnz .LBB2_998
; %bb.925:                              ;   in Loop: Header=BB2_32 Depth=1
	ds_load_b64 v[17:18], v0
	v_add_co_u32 v2, vcc_lo, v2, v100
	v_add_co_ci_u32_e32 v3, vcc_lo, v3, v103, vcc_lo
	s_mov_b32 s18, exec_lo
	s_waitcnt lgkmcnt(0)
	s_delay_alu instid0(VALU_DEP_1)
	v_cmpx_lt_u64_e64 v[17:18], v[2:3]
	s_cbranch_execz .LBB2_936
; %bb.926:                              ;   in Loop: Header=BB2_32 Depth=1
	s_mov_b32 s19, 0
	s_mov_b32 s22, 0
                                        ; implicit-def: $sgpr20
                                        ; implicit-def: $sgpr21
	s_branch .LBB2_928
.LBB2_927:                              ;   in Loop: Header=BB2_928 Depth=2
	s_or_b32 exec_lo, exec_lo, s25
	s_delay_alu instid0(SALU_CYCLE_1) | instskip(NEXT) | instid1(SALU_CYCLE_1)
	s_and_b32 s23, exec_lo, s24
	s_or_b32 s19, s23, s19
	s_and_not1_b32 s20, s20, exec_lo
	s_and_b32 s23, s21, exec_lo
	s_delay_alu instid0(SALU_CYCLE_1)
	s_or_b32 s20, s20, s23
	s_and_not1_b32 exec_lo, exec_lo, s19
	s_cbranch_execz .LBB2_934
.LBB2_928:                              ;   Parent Loop BB2_32 Depth=1
                                        ; =>  This Inner Loop Header: Depth=2
	s_add_i32 s22, s22, 1
                                        ; implicit-def: $sgpr24
	s_delay_alu instid0(SALU_CYCLE_1) | instskip(SKIP_1) | instid1(SALU_CYCLE_1)
	s_cmpk_lg_i32 s22, 0x2710
	s_cselect_b32 s23, -1, 0
	s_and_b32 vcc_lo, exec_lo, s23
	s_cbranch_vccz .LBB2_932
.LBB2_929:                              ;   in Loop: Header=BB2_928 Depth=2
	s_and_not1_b32 s21, s21, exec_lo
	s_and_b32 s25, s24, exec_lo
	s_mov_b32 s24, -1
	s_or_b32 s21, s21, s25
	s_and_saveexec_b32 s25, s23
	s_cbranch_execz .LBB2_927
; %bb.930:                              ;   in Loop: Header=BB2_928 Depth=2
	s_sleep 1
	s_cbranch_execnz .LBB2_1018
; %bb.931:                              ;   in Loop: Header=BB2_928 Depth=2
	ds_load_b64 v[17:18], v0
	s_and_not1_b32 s21, s21, exec_lo
	s_waitcnt lgkmcnt(0)
	v_cmp_ge_u64_e32 vcc_lo, v[17:18], v[2:3]
	s_or_not1_b32 s24, vcc_lo, exec_lo
	s_branch .LBB2_927
.LBB2_932:                              ;   in Loop: Header=BB2_928 Depth=2
	s_cbranch_execnz .LBB2_1020
; %bb.933:                              ;   in Loop: Header=BB2_928 Depth=2
	ds_load_b64 v[17:18], v0
	s_and_not1_b32 s23, s23, exec_lo
	s_mov_b32 s22, 0
	s_mov_b32 s24, -1
	s_waitcnt lgkmcnt(0)
	flat_load_b32 v17, v[17:18] glc
	s_waitcnt vmcnt(0) lgkmcnt(0)
	buffer_gl1_inv
	buffer_gl0_inv
	v_cmp_eq_u32_e32 vcc_lo, 0, v17
	s_and_b32 s25, vcc_lo, exec_lo
	s_delay_alu instid0(SALU_CYCLE_1)
	s_or_b32 s23, s23, s25
	s_branch .LBB2_929
.LBB2_934:                              ;   in Loop: Header=BB2_32 Depth=1
	s_or_b32 exec_lo, exec_lo, s19
	s_and_saveexec_b32 s19, s20
	s_delay_alu instid0(SALU_CYCLE_1)
	s_xor_b32 s19, exec_lo, s19
	s_cbranch_execz .LBB2_936
; %bb.935:                              ;   in Loop: Header=BB2_32 Depth=1
	ds_store_b32 v0, v129
	s_cbranch_execnz .LBB2_1037
.LBB2_936:                              ;   in Loop: Header=BB2_32 Depth=1
	s_or_b32 exec_lo, exec_lo, s18
	;;#ASMSTART
	s_wakeup
	;;#ASMEND
.LBB2_937:                              ;   in Loop: Header=BB2_32 Depth=1
	s_or_b32 exec_lo, exec_lo, s10
.LBB2_938:                              ;   in Loop: Header=BB2_32 Depth=1
	s_and_not1_saveexec_b32 s9, s9
	s_cbranch_execz .LBB2_940
; %bb.939:                              ;   in Loop: Header=BB2_32 Depth=1
	s_waitcnt vmcnt(0) lgkmcnt(0)
	s_waitcnt_vscnt null, 0x0
	buffer_gl1_inv
	buffer_gl0_inv
	s_barrier
.LBB2_940:                              ;   in Loop: Header=BB2_32 Depth=1
	s_or_b32 exec_lo, exec_lo, s9
.LBB2_941:                              ;   in Loop: Header=BB2_32 Depth=1
	s_delay_alu instid0(SALU_CYCLE_1)
	s_or_b32 exec_lo, exec_lo, s8
	s_and_saveexec_b32 s8, s7
	s_cbranch_execz .LBB2_943
; %bb.942:                              ;   in Loop: Header=BB2_32 Depth=1
	v_add_co_u32 v48, vcc_lo, v48, 1
	v_add_co_ci_u32_e32 v49, vcc_lo, 0, v49, vcc_lo
	s_waitcnt vmcnt(0) lgkmcnt(0)
	s_waitcnt_vscnt null, 0x0
	flat_store_b64 v[36:37], v[48:49]
.LBB2_943:                              ;   in Loop: Header=BB2_32 Depth=1
	s_or_b32 exec_lo, exec_lo, s8
	v_add_co_u32 v9, vcc_lo, v9, v64
	v_add_co_ci_u32_e32 v10, vcc_lo, 0, v10, vcc_lo
	v_add_co_u32 v32, vcc_lo, v32, 1
	v_add_co_ci_u32_e32 v33, vcc_lo, 0, v33, vcc_lo
	s_delay_alu instid0(VALU_DEP_3) | instskip(SKIP_1) | instid1(VALU_DEP_1)
	v_cmp_ge_u64_e32 vcc_lo, v[9:10], v[7:8]
	v_add_co_u32 v5, s8, v5, v64
	v_add_co_ci_u32_e64 v6, s8, 0, v6, s8
	s_or_b32 s16, vcc_lo, s16
	s_delay_alu instid0(SALU_CYCLE_1)
	s_and_not1_b32 exec_lo, exec_lo, s16
	s_cbranch_execnz .LBB2_32
; %bb.944:
	s_or_b32 exec_lo, exec_lo, s16
.LBB2_945:
	s_delay_alu instid0(SALU_CYCLE_1)
	s_or_b32 exec_lo, exec_lo, s12
	s_and_saveexec_b32 s1, s11
	s_cbranch_execz .LBB2_947
; %bb.946:
	s_waitcnt vmcnt(0) lgkmcnt(0)
	flat_store_b64 v[27:28], v[48:49] offset:104
.LBB2_947:
	s_or_b32 exec_lo, exec_lo, s1
	s_and_saveexec_b32 s1, s0
	s_cbranch_execz .LBB2_949
; %bb.948:
	s_waitcnt vmcnt(0) lgkmcnt(0)
	flat_store_b64 v[34:35], v[15:16] offset:104
.LBB2_949:
	s_or_b32 exec_lo, exec_lo, s1
	s_delay_alu instid0(SALU_CYCLE_1)
	s_mov_b32 s0, exec_lo
	v_cmpx_ne_u32_e32 32, v1
	s_cbranch_execz .LBB2_1028
; %bb.950:
	s_mov_b32 s1, exec_lo
	v_cmpx_ne_u32_e64 v0, v1
	s_xor_b32 s1, exec_lo, s1
	s_cbranch_execz .LBB2_1026
; %bb.951:
	v_and_b32_e32 v0, 31, v31
	s_mov_b32 s2, exec_lo
	s_delay_alu instid0(VALU_DEP_1)
	v_cmpx_eq_u32_e32 0, v0
	s_cbranch_execz .LBB2_1025
; %bb.952:
	s_mov_b32 s4, exec_lo
	s_mov_b32 s3, exec_lo
	v_mbcnt_lo_u32_b32 v0, s4, 0
	s_waitcnt vmcnt(0) lgkmcnt(0)
	s_waitcnt_vscnt null, 0x0
	buffer_gl1_inv
	buffer_gl0_inv
	v_cmpx_eq_u32_e32 0, v0
	s_cbranch_execz .LBB2_954
; %bb.953:
	s_bcnt1_i32_b32 s4, s4
	s_delay_alu instid0(SALU_CYCLE_1)
	v_dual_mov_b32 v5, 0 :: v_dual_mov_b32 v4, s4
	ds_add_u64 v0, v[4:5]
	s_cbranch_execnz .LBB2_986
.LBB2_954:
	s_or_b32 exec_lo, exec_lo, s3
	s_cbranch_execnz .LBB2_971
; %bb.955:
	v_ashrrev_i32_e32 v0, 31, v1
	s_mov_b32 s3, exec_lo
	s_delay_alu instid0(VALU_DEP_1) | instskip(NEXT) | instid1(VALU_DEP_1)
	v_lshrrev_b32_e32 v0, 27, v0
	v_add_nc_u32_e32 v0, v1, v0
	ds_load_b64 v[4:5], v0
	v_ashrrev_i32_e32 v0, 5, v0
	s_delay_alu instid0(VALU_DEP_1) | instskip(SKIP_1) | instid1(VALU_DEP_2)
	v_ashrrev_i32_e32 v1, 31, v0
	v_add_co_u32 v0, vcc_lo, v2, v0
	v_add_co_ci_u32_e32 v1, vcc_lo, v3, v1, vcc_lo
	s_waitcnt lgkmcnt(0)
	s_delay_alu instid0(VALU_DEP_1)
	v_cmpx_lt_u64_e64 v[4:5], v[0:1]
	s_cbranch_execz .LBB2_1024
; %bb.956:
	s_mov_b32 s4, 0
	s_mov_b32 s7, 0
                                        ; implicit-def: $sgpr5
                                        ; implicit-def: $sgpr6
	s_branch .LBB2_976
.LBB2_957:
	s_trap 2
	s_sendmsg_rtn_b32 s0, sendmsg(MSG_RTN_GET_DOORBELL)
	s_mov_b32 ttmp2, m0
	s_waitcnt lgkmcnt(0)
	s_and_b32 s0, s0, 0x3ff
	s_delay_alu instid0(SALU_CYCLE_1) | instskip(NEXT) | instid1(SALU_CYCLE_1)
	s_bitset1_b32 s0, 10
	s_mov_b32 m0, s0
	s_sendmsg sendmsg(MSG_INTERRUPT)
	s_mov_b32 m0, ttmp2
.LBB2_958:                              ; =>This Inner Loop Header: Depth=1
	s_sethalt 5
	s_branch .LBB2_958
.LBB2_959:
	s_trap 2
	s_sendmsg_rtn_b32 s0, sendmsg(MSG_RTN_GET_DOORBELL)
	s_mov_b32 ttmp2, m0
	s_waitcnt lgkmcnt(0)
	s_and_b32 s0, s0, 0x3ff
	s_delay_alu instid0(SALU_CYCLE_1) | instskip(NEXT) | instid1(SALU_CYCLE_1)
	s_bitset1_b32 s0, 10
	s_mov_b32 m0, s0
	s_sendmsg sendmsg(MSG_INTERRUPT)
	s_mov_b32 m0, ttmp2
.LBB2_960:                              ; =>This Inner Loop Header: Depth=1
	s_sethalt 5
	s_branch .LBB2_960
.LBB2_961:
	s_trap 2
	s_sendmsg_rtn_b32 s0, sendmsg(MSG_RTN_GET_DOORBELL)
	s_mov_b32 ttmp2, m0
	s_waitcnt lgkmcnt(0)
	s_and_b32 s0, s0, 0x3ff
	s_delay_alu instid0(SALU_CYCLE_1) | instskip(NEXT) | instid1(SALU_CYCLE_1)
	s_bitset1_b32 s0, 10
	s_mov_b32 m0, s0
	s_sendmsg sendmsg(MSG_INTERRUPT)
	s_mov_b32 m0, ttmp2
.LBB2_962:                              ; =>This Inner Loop Header: Depth=1
	s_sethalt 5
	s_branch .LBB2_962
.LBB2_963:
	s_trap 2
	s_sendmsg_rtn_b32 s0, sendmsg(MSG_RTN_GET_DOORBELL)
	s_mov_b32 ttmp2, m0
	s_waitcnt lgkmcnt(0)
	s_and_b32 s0, s0, 0x3ff
	s_delay_alu instid0(SALU_CYCLE_1) | instskip(NEXT) | instid1(SALU_CYCLE_1)
	s_bitset1_b32 s0, 10
	s_mov_b32 m0, s0
	s_sendmsg sendmsg(MSG_INTERRUPT)
	s_mov_b32 m0, ttmp2
.LBB2_964:                              ; =>This Inner Loop Header: Depth=1
	s_sethalt 5
	s_branch .LBB2_964
.LBB2_965:
	s_trap 2
	s_sendmsg_rtn_b32 s0, sendmsg(MSG_RTN_GET_DOORBELL)
	s_mov_b32 ttmp2, m0
	s_waitcnt lgkmcnt(0)
	s_and_b32 s0, s0, 0x3ff
	s_delay_alu instid0(SALU_CYCLE_1) | instskip(NEXT) | instid1(SALU_CYCLE_1)
	s_bitset1_b32 s0, 10
	s_mov_b32 m0, s0
	s_sendmsg sendmsg(MSG_INTERRUPT)
	s_mov_b32 m0, ttmp2
.LBB2_966:                              ; =>This Inner Loop Header: Depth=1
	s_sethalt 5
	s_branch .LBB2_966
.LBB2_967:
	s_trap 2
	s_sendmsg_rtn_b32 s0, sendmsg(MSG_RTN_GET_DOORBELL)
	s_mov_b32 ttmp2, m0
	s_waitcnt lgkmcnt(0)
	s_and_b32 s0, s0, 0x3ff
	s_delay_alu instid0(SALU_CYCLE_1) | instskip(NEXT) | instid1(SALU_CYCLE_1)
	s_bitset1_b32 s0, 10
	s_mov_b32 m0, s0
	s_sendmsg sendmsg(MSG_INTERRUPT)
	s_mov_b32 m0, ttmp2
.LBB2_968:                              ; =>This Inner Loop Header: Depth=1
	s_sethalt 5
	s_branch .LBB2_968
.LBB2_969:
	s_trap 2
	s_sendmsg_rtn_b32 s0, sendmsg(MSG_RTN_GET_DOORBELL)
	s_mov_b32 ttmp2, m0
	s_waitcnt lgkmcnt(0)
	s_and_b32 s0, s0, 0x3ff
	s_delay_alu instid0(SALU_CYCLE_1) | instskip(NEXT) | instid1(SALU_CYCLE_1)
	s_bitset1_b32 s0, 10
	s_mov_b32 m0, s0
	s_sendmsg sendmsg(MSG_INTERRUPT)
	s_mov_b32 m0, ttmp2
.LBB2_970:                              ; =>This Inner Loop Header: Depth=1
	s_sethalt 5
	s_branch .LBB2_970
.LBB2_971:
	s_trap 2
	s_sendmsg_rtn_b32 s0, sendmsg(MSG_RTN_GET_DOORBELL)
	s_mov_b32 ttmp2, m0
	s_waitcnt lgkmcnt(0)
	s_and_b32 s0, s0, 0x3ff
	s_delay_alu instid0(SALU_CYCLE_1) | instskip(NEXT) | instid1(SALU_CYCLE_1)
	s_bitset1_b32 s0, 10
	s_mov_b32 m0, s0
	s_sendmsg sendmsg(MSG_INTERRUPT)
	s_mov_b32 m0, ttmp2
.LBB2_972:                              ; =>This Inner Loop Header: Depth=1
	s_sethalt 5
	s_branch .LBB2_972
.LBB2_973:
	s_trap 2
	s_sendmsg_rtn_b32 s0, sendmsg(MSG_RTN_GET_DOORBELL)
	s_mov_b32 ttmp2, m0
	s_waitcnt lgkmcnt(0)
	s_and_b32 s0, s0, 0x3ff
	s_delay_alu instid0(SALU_CYCLE_1) | instskip(NEXT) | instid1(SALU_CYCLE_1)
	s_bitset1_b32 s0, 10
	s_mov_b32 m0, s0
	s_sendmsg sendmsg(MSG_INTERRUPT)
	s_mov_b32 m0, ttmp2
.LBB2_974:                              ; =>This Inner Loop Header: Depth=1
	s_sethalt 5
	s_branch .LBB2_974
.LBB2_975:                              ;   in Loop: Header=BB2_976 Depth=1
	s_or_b32 exec_lo, exec_lo, s10
	s_delay_alu instid0(SALU_CYCLE_1) | instskip(NEXT) | instid1(SALU_CYCLE_1)
	s_and_b32 s8, exec_lo, s9
	s_or_b32 s4, s8, s4
	s_and_not1_b32 s5, s5, exec_lo
	s_and_b32 s8, s6, exec_lo
	s_delay_alu instid0(SALU_CYCLE_1)
	s_or_b32 s5, s5, s8
	s_and_not1_b32 exec_lo, exec_lo, s4
	s_cbranch_execz .LBB2_1022
.LBB2_976:                              ; =>This Inner Loop Header: Depth=1
	s_add_i32 s7, s7, 1
                                        ; implicit-def: $sgpr9
	s_delay_alu instid0(SALU_CYCLE_1) | instskip(SKIP_1) | instid1(SALU_CYCLE_1)
	s_cmpk_lg_i32 s7, 0x2710
	s_cselect_b32 s8, -1, 0
	s_and_b32 vcc_lo, exec_lo, s8
	s_cbranch_vccz .LBB2_980
.LBB2_977:                              ;   in Loop: Header=BB2_976 Depth=1
	s_and_not1_b32 s6, s6, exec_lo
	s_and_b32 s10, s9, exec_lo
	s_mov_b32 s9, -1
	s_or_b32 s6, s6, s10
	s_and_saveexec_b32 s10, s8
	s_cbranch_execz .LBB2_975
; %bb.978:                              ;   in Loop: Header=BB2_976 Depth=1
	s_sleep 1
	s_cbranch_execnz .LBB2_1000
; %bb.979:                              ;   in Loop: Header=BB2_976 Depth=1
	ds_load_b64 v[2:3], v0
	s_and_not1_b32 s6, s6, exec_lo
	s_waitcnt lgkmcnt(0)
	v_cmp_ge_u64_e32 vcc_lo, v[2:3], v[0:1]
	s_or_not1_b32 s9, vcc_lo, exec_lo
	s_branch .LBB2_975
.LBB2_980:                              ;   in Loop: Header=BB2_976 Depth=1
	s_cbranch_execnz .LBB2_1006
; %bb.981:                              ;   in Loop: Header=BB2_976 Depth=1
	ds_load_b64 v[2:3], v0
	s_and_not1_b32 s8, s8, exec_lo
	s_mov_b32 s7, 0
	s_mov_b32 s9, -1
	s_waitcnt lgkmcnt(0)
	flat_load_b32 v2, v[2:3] glc
	s_waitcnt vmcnt(0) lgkmcnt(0)
	buffer_gl1_inv
	buffer_gl0_inv
	v_cmp_eq_u32_e32 vcc_lo, 0, v2
	s_and_b32 s10, vcc_lo, exec_lo
	s_delay_alu instid0(SALU_CYCLE_1)
	s_or_b32 s8, s8, s10
	s_branch .LBB2_977
.LBB2_982:
	s_trap 2
	s_sendmsg_rtn_b32 s0, sendmsg(MSG_RTN_GET_DOORBELL)
	s_mov_b32 ttmp2, m0
	s_waitcnt lgkmcnt(0)
	s_and_b32 s0, s0, 0x3ff
	s_delay_alu instid0(SALU_CYCLE_1) | instskip(NEXT) | instid1(SALU_CYCLE_1)
	s_bitset1_b32 s0, 10
	s_mov_b32 m0, s0
	s_sendmsg sendmsg(MSG_INTERRUPT)
	s_mov_b32 m0, ttmp2
.LBB2_983:                              ; =>This Inner Loop Header: Depth=1
	s_sethalt 5
	s_branch .LBB2_983
.LBB2_984:
	s_trap 2
	s_sendmsg_rtn_b32 s0, sendmsg(MSG_RTN_GET_DOORBELL)
	s_mov_b32 ttmp2, m0
	s_waitcnt lgkmcnt(0)
	s_and_b32 s0, s0, 0x3ff
	s_delay_alu instid0(SALU_CYCLE_1) | instskip(NEXT) | instid1(SALU_CYCLE_1)
	s_bitset1_b32 s0, 10
	s_mov_b32 m0, s0
	s_sendmsg sendmsg(MSG_INTERRUPT)
	s_mov_b32 m0, ttmp2
.LBB2_985:                              ; =>This Inner Loop Header: Depth=1
	s_sethalt 5
	s_branch .LBB2_985
.LBB2_986:
	s_trap 2
	s_sendmsg_rtn_b32 s0, sendmsg(MSG_RTN_GET_DOORBELL)
	s_mov_b32 ttmp2, m0
	s_waitcnt lgkmcnt(0)
	s_and_b32 s0, s0, 0x3ff
	s_delay_alu instid0(SALU_CYCLE_1) | instskip(NEXT) | instid1(SALU_CYCLE_1)
	s_bitset1_b32 s0, 10
	s_mov_b32 m0, s0
	s_sendmsg sendmsg(MSG_INTERRUPT)
	s_mov_b32 m0, ttmp2
.LBB2_987:                              ; =>This Inner Loop Header: Depth=1
	s_sethalt 5
	s_branch .LBB2_987
.LBB2_988:
	s_trap 2
	s_sendmsg_rtn_b32 s0, sendmsg(MSG_RTN_GET_DOORBELL)
	s_mov_b32 ttmp2, m0
	s_waitcnt lgkmcnt(0)
	s_and_b32 s0, s0, 0x3ff
	s_delay_alu instid0(SALU_CYCLE_1) | instskip(NEXT) | instid1(SALU_CYCLE_1)
	s_bitset1_b32 s0, 10
	s_mov_b32 m0, s0
	s_sendmsg sendmsg(MSG_INTERRUPT)
	s_mov_b32 m0, ttmp2
.LBB2_989:                              ; =>This Inner Loop Header: Depth=1
	s_sethalt 5
	s_branch .LBB2_989
.LBB2_990:
	s_trap 2
	s_sendmsg_rtn_b32 s0, sendmsg(MSG_RTN_GET_DOORBELL)
	s_mov_b32 ttmp2, m0
	s_waitcnt lgkmcnt(0)
	s_and_b32 s0, s0, 0x3ff
	s_delay_alu instid0(SALU_CYCLE_1) | instskip(NEXT) | instid1(SALU_CYCLE_1)
	s_bitset1_b32 s0, 10
	s_mov_b32 m0, s0
	s_sendmsg sendmsg(MSG_INTERRUPT)
	s_mov_b32 m0, ttmp2
.LBB2_991:                              ; =>This Inner Loop Header: Depth=1
	s_sethalt 5
	s_branch .LBB2_991
.LBB2_992:
	s_trap 2
	s_sendmsg_rtn_b32 s0, sendmsg(MSG_RTN_GET_DOORBELL)
	s_mov_b32 ttmp2, m0
	s_waitcnt lgkmcnt(0)
	s_and_b32 s0, s0, 0x3ff
	s_delay_alu instid0(SALU_CYCLE_1) | instskip(NEXT) | instid1(SALU_CYCLE_1)
	s_bitset1_b32 s0, 10
	s_mov_b32 m0, s0
	s_sendmsg sendmsg(MSG_INTERRUPT)
	s_mov_b32 m0, ttmp2
.LBB2_993:                              ; =>This Inner Loop Header: Depth=1
	s_sethalt 5
	s_branch .LBB2_993
.LBB2_994:
	s_trap 2
	s_sendmsg_rtn_b32 s0, sendmsg(MSG_RTN_GET_DOORBELL)
	s_mov_b32 ttmp2, m0
	s_waitcnt lgkmcnt(0)
	s_and_b32 s0, s0, 0x3ff
	s_delay_alu instid0(SALU_CYCLE_1) | instskip(NEXT) | instid1(SALU_CYCLE_1)
	s_bitset1_b32 s0, 10
	s_mov_b32 m0, s0
	s_sendmsg sendmsg(MSG_INTERRUPT)
	s_mov_b32 m0, ttmp2
.LBB2_995:                              ; =>This Inner Loop Header: Depth=1
	s_sethalt 5
	s_branch .LBB2_995
.LBB2_996:
	s_trap 2
	s_sendmsg_rtn_b32 s0, sendmsg(MSG_RTN_GET_DOORBELL)
	s_mov_b32 ttmp2, m0
	s_waitcnt lgkmcnt(0)
	s_and_b32 s0, s0, 0x3ff
	s_delay_alu instid0(SALU_CYCLE_1) | instskip(NEXT) | instid1(SALU_CYCLE_1)
	s_bitset1_b32 s0, 10
	s_mov_b32 m0, s0
	s_sendmsg sendmsg(MSG_INTERRUPT)
	s_mov_b32 m0, ttmp2
.LBB2_997:                              ; =>This Inner Loop Header: Depth=1
	s_sethalt 5
	s_branch .LBB2_997
.LBB2_998:
	s_trap 2
	s_sendmsg_rtn_b32 s0, sendmsg(MSG_RTN_GET_DOORBELL)
	s_mov_b32 ttmp2, m0
	s_waitcnt lgkmcnt(0)
	s_and_b32 s0, s0, 0x3ff
	s_delay_alu instid0(SALU_CYCLE_1) | instskip(NEXT) | instid1(SALU_CYCLE_1)
	s_bitset1_b32 s0, 10
	s_mov_b32 m0, s0
	s_sendmsg sendmsg(MSG_INTERRUPT)
	s_mov_b32 m0, ttmp2
.LBB2_999:                              ; =>This Inner Loop Header: Depth=1
	s_sethalt 5
	s_branch .LBB2_999
.LBB2_1000:
	s_trap 2
	s_sendmsg_rtn_b32 s0, sendmsg(MSG_RTN_GET_DOORBELL)
	s_mov_b32 ttmp2, m0
	s_waitcnt lgkmcnt(0)
	s_and_b32 s0, s0, 0x3ff
	s_delay_alu instid0(SALU_CYCLE_1) | instskip(NEXT) | instid1(SALU_CYCLE_1)
	s_bitset1_b32 s0, 10
	s_mov_b32 m0, s0
	s_sendmsg sendmsg(MSG_INTERRUPT)
	s_mov_b32 m0, ttmp2
.LBB2_1001:                             ; =>This Inner Loop Header: Depth=1
	s_sethalt 5
	s_branch .LBB2_1001
.LBB2_1002:
	s_trap 2
	s_sendmsg_rtn_b32 s0, sendmsg(MSG_RTN_GET_DOORBELL)
	s_mov_b32 ttmp2, m0
	s_waitcnt lgkmcnt(0)
	s_and_b32 s0, s0, 0x3ff
	s_delay_alu instid0(SALU_CYCLE_1) | instskip(NEXT) | instid1(SALU_CYCLE_1)
	s_bitset1_b32 s0, 10
	s_mov_b32 m0, s0
	s_sendmsg sendmsg(MSG_INTERRUPT)
	s_mov_b32 m0, ttmp2
.LBB2_1003:                             ; =>This Inner Loop Header: Depth=1
	s_sethalt 5
	s_branch .LBB2_1003
.LBB2_1004:
	s_trap 2
	s_sendmsg_rtn_b32 s0, sendmsg(MSG_RTN_GET_DOORBELL)
	s_mov_b32 ttmp2, m0
	s_waitcnt lgkmcnt(0)
	s_and_b32 s0, s0, 0x3ff
	s_delay_alu instid0(SALU_CYCLE_1) | instskip(NEXT) | instid1(SALU_CYCLE_1)
	s_bitset1_b32 s0, 10
	s_mov_b32 m0, s0
	s_sendmsg sendmsg(MSG_INTERRUPT)
	s_mov_b32 m0, ttmp2
.LBB2_1005:                             ; =>This Inner Loop Header: Depth=1
	s_sethalt 5
	s_branch .LBB2_1005
.LBB2_1006:
	s_trap 2
	s_sendmsg_rtn_b32 s0, sendmsg(MSG_RTN_GET_DOORBELL)
	s_mov_b32 ttmp2, m0
	s_waitcnt lgkmcnt(0)
	s_and_b32 s0, s0, 0x3ff
	s_delay_alu instid0(SALU_CYCLE_1) | instskip(NEXT) | instid1(SALU_CYCLE_1)
	s_bitset1_b32 s0, 10
	s_mov_b32 m0, s0
	s_sendmsg sendmsg(MSG_INTERRUPT)
	s_mov_b32 m0, ttmp2
.LBB2_1007:                             ; =>This Inner Loop Header: Depth=1
	s_sethalt 5
	s_branch .LBB2_1007
.LBB2_1008:
	s_trap 2
	s_sendmsg_rtn_b32 s0, sendmsg(MSG_RTN_GET_DOORBELL)
	s_mov_b32 ttmp2, m0
	s_waitcnt lgkmcnt(0)
	s_and_b32 s0, s0, 0x3ff
	s_delay_alu instid0(SALU_CYCLE_1) | instskip(NEXT) | instid1(SALU_CYCLE_1)
	s_bitset1_b32 s0, 10
	s_mov_b32 m0, s0
	s_sendmsg sendmsg(MSG_INTERRUPT)
	s_mov_b32 m0, ttmp2
.LBB2_1009:                             ; =>This Inner Loop Header: Depth=1
	s_sethalt 5
	s_branch .LBB2_1009
.LBB2_1010:
	s_trap 2
	s_sendmsg_rtn_b32 s0, sendmsg(MSG_RTN_GET_DOORBELL)
	s_mov_b32 ttmp2, m0
	s_waitcnt lgkmcnt(0)
	s_and_b32 s0, s0, 0x3ff
	s_delay_alu instid0(SALU_CYCLE_1) | instskip(NEXT) | instid1(SALU_CYCLE_1)
	s_bitset1_b32 s0, 10
	s_mov_b32 m0, s0
	s_sendmsg sendmsg(MSG_INTERRUPT)
	s_mov_b32 m0, ttmp2
.LBB2_1011:                             ; =>This Inner Loop Header: Depth=1
	s_sethalt 5
	s_branch .LBB2_1011
.LBB2_1012:
	s_trap 2
	s_sendmsg_rtn_b32 s0, sendmsg(MSG_RTN_GET_DOORBELL)
	s_mov_b32 ttmp2, m0
	s_waitcnt lgkmcnt(0)
	s_and_b32 s0, s0, 0x3ff
	s_delay_alu instid0(SALU_CYCLE_1) | instskip(NEXT) | instid1(SALU_CYCLE_1)
	s_bitset1_b32 s0, 10
	s_mov_b32 m0, s0
	s_sendmsg sendmsg(MSG_INTERRUPT)
	s_mov_b32 m0, ttmp2
.LBB2_1013:                             ; =>This Inner Loop Header: Depth=1
	s_sethalt 5
	s_branch .LBB2_1013
.LBB2_1014:
	s_trap 2
	s_sendmsg_rtn_b32 s0, sendmsg(MSG_RTN_GET_DOORBELL)
	s_mov_b32 ttmp2, m0
	s_waitcnt lgkmcnt(0)
	s_and_b32 s0, s0, 0x3ff
	s_delay_alu instid0(SALU_CYCLE_1) | instskip(NEXT) | instid1(SALU_CYCLE_1)
	s_bitset1_b32 s0, 10
	s_mov_b32 m0, s0
	s_sendmsg sendmsg(MSG_INTERRUPT)
	s_mov_b32 m0, ttmp2
.LBB2_1015:                             ; =>This Inner Loop Header: Depth=1
	s_sethalt 5
	s_branch .LBB2_1015
.LBB2_1016:
	s_trap 2
	s_sendmsg_rtn_b32 s0, sendmsg(MSG_RTN_GET_DOORBELL)
	s_mov_b32 ttmp2, m0
	s_waitcnt lgkmcnt(0)
	s_and_b32 s0, s0, 0x3ff
	s_delay_alu instid0(SALU_CYCLE_1) | instskip(NEXT) | instid1(SALU_CYCLE_1)
	s_bitset1_b32 s0, 10
	s_mov_b32 m0, s0
	s_sendmsg sendmsg(MSG_INTERRUPT)
	s_mov_b32 m0, ttmp2
.LBB2_1017:                             ; =>This Inner Loop Header: Depth=1
	s_sethalt 5
	s_branch .LBB2_1017
.LBB2_1018:
	s_trap 2
	s_sendmsg_rtn_b32 s0, sendmsg(MSG_RTN_GET_DOORBELL)
	s_mov_b32 ttmp2, m0
	s_waitcnt lgkmcnt(0)
	s_and_b32 s0, s0, 0x3ff
	s_delay_alu instid0(SALU_CYCLE_1) | instskip(NEXT) | instid1(SALU_CYCLE_1)
	s_bitset1_b32 s0, 10
	s_mov_b32 m0, s0
	s_sendmsg sendmsg(MSG_INTERRUPT)
	s_mov_b32 m0, ttmp2
.LBB2_1019:                             ; =>This Inner Loop Header: Depth=1
	s_sethalt 5
	s_branch .LBB2_1019
.LBB2_1020:
	s_trap 2
	s_sendmsg_rtn_b32 s0, sendmsg(MSG_RTN_GET_DOORBELL)
	s_mov_b32 ttmp2, m0
	s_waitcnt lgkmcnt(0)
	s_and_b32 s0, s0, 0x3ff
	s_delay_alu instid0(SALU_CYCLE_1) | instskip(NEXT) | instid1(SALU_CYCLE_1)
	s_bitset1_b32 s0, 10
	s_mov_b32 m0, s0
	s_sendmsg sendmsg(MSG_INTERRUPT)
	s_mov_b32 m0, ttmp2
.LBB2_1021:                             ; =>This Inner Loop Header: Depth=1
	s_sethalt 5
	s_branch .LBB2_1021
.LBB2_1022:
	s_or_b32 exec_lo, exec_lo, s4
	s_and_saveexec_b32 s4, s5
	s_delay_alu instid0(SALU_CYCLE_1)
	s_xor_b32 s4, exec_lo, s4
	s_cbranch_execz .LBB2_1024
; %bb.1023:
	v_mov_b32_e32 v0, 1
	ds_store_b32 v0, v0
	s_cbranch_execnz .LBB2_1031
.LBB2_1024:
	s_or_b32 exec_lo, exec_lo, s3
	;;#ASMSTART
	s_wakeup
	;;#ASMEND
.LBB2_1025:
	s_or_b32 exec_lo, exec_lo, s2
.LBB2_1026:
	s_and_not1_saveexec_b32 s1, s1
	s_cbranch_execz .LBB2_1028
; %bb.1027:
	s_waitcnt vmcnt(0) lgkmcnt(0)
	s_waitcnt_vscnt null, 0x0
	buffer_gl1_inv
	buffer_gl0_inv
	s_barrier
.LBB2_1028:
	s_or_b32 exec_lo, exec_lo, s0
	s_waitcnt vmcnt(0) lgkmcnt(0)
	s_setpc_b64 s[30:31]
.LBB2_1029:
	s_trap 2
	s_sendmsg_rtn_b32 s0, sendmsg(MSG_RTN_GET_DOORBELL)
	s_mov_b32 ttmp2, m0
	s_waitcnt lgkmcnt(0)
	s_and_b32 s0, s0, 0x3ff
	s_delay_alu instid0(SALU_CYCLE_1) | instskip(NEXT) | instid1(SALU_CYCLE_1)
	s_bitset1_b32 s0, 10
	s_mov_b32 m0, s0
	s_sendmsg sendmsg(MSG_INTERRUPT)
	s_mov_b32 m0, ttmp2
.LBB2_1030:                             ; =>This Inner Loop Header: Depth=1
	s_sethalt 5
	s_branch .LBB2_1030
.LBB2_1031:
	s_trap 2
	s_sendmsg_rtn_b32 s0, sendmsg(MSG_RTN_GET_DOORBELL)
	s_mov_b32 ttmp2, m0
	s_waitcnt lgkmcnt(0)
	s_and_b32 s0, s0, 0x3ff
	s_delay_alu instid0(SALU_CYCLE_1) | instskip(NEXT) | instid1(SALU_CYCLE_1)
	s_bitset1_b32 s0, 10
	s_mov_b32 m0, s0
	s_sendmsg sendmsg(MSG_INTERRUPT)
	s_mov_b32 m0, ttmp2
.LBB2_1032:                             ; =>This Inner Loop Header: Depth=1
	s_sethalt 5
	s_branch .LBB2_1032
.LBB2_1033:
	s_trap 2
	s_sendmsg_rtn_b32 s0, sendmsg(MSG_RTN_GET_DOORBELL)
	s_mov_b32 ttmp2, m0
	s_waitcnt lgkmcnt(0)
	s_and_b32 s0, s0, 0x3ff
	s_delay_alu instid0(SALU_CYCLE_1) | instskip(NEXT) | instid1(SALU_CYCLE_1)
	s_bitset1_b32 s0, 10
	s_mov_b32 m0, s0
	s_sendmsg sendmsg(MSG_INTERRUPT)
	s_mov_b32 m0, ttmp2
.LBB2_1034:                             ; =>This Inner Loop Header: Depth=1
	s_sethalt 5
	s_branch .LBB2_1034
.LBB2_1035:
	s_trap 2
	s_sendmsg_rtn_b32 s0, sendmsg(MSG_RTN_GET_DOORBELL)
	s_mov_b32 ttmp2, m0
	s_waitcnt lgkmcnt(0)
	s_and_b32 s0, s0, 0x3ff
	s_delay_alu instid0(SALU_CYCLE_1) | instskip(NEXT) | instid1(SALU_CYCLE_1)
	s_bitset1_b32 s0, 10
	s_mov_b32 m0, s0
	s_sendmsg sendmsg(MSG_INTERRUPT)
	s_mov_b32 m0, ttmp2
.LBB2_1036:                             ; =>This Inner Loop Header: Depth=1
	s_sethalt 5
	s_branch .LBB2_1036
.LBB2_1037:
	s_trap 2
	s_sendmsg_rtn_b32 s0, sendmsg(MSG_RTN_GET_DOORBELL)
	s_mov_b32 ttmp2, m0
	s_waitcnt lgkmcnt(0)
	s_and_b32 s0, s0, 0x3ff
	s_delay_alu instid0(SALU_CYCLE_1) | instskip(NEXT) | instid1(SALU_CYCLE_1)
	s_bitset1_b32 s0, 10
	s_mov_b32 m0, s0
	s_sendmsg sendmsg(MSG_INTERRUPT)
	s_mov_b32 m0, ttmp2
.LBB2_1038:                             ; =>This Inner Loop Header: Depth=1
	s_sethalt 5
	s_branch .LBB2_1038
.Lfunc_end2:
	.size	_ZN12_GLOBAL__N_17runRingI12rccl_bfloat810FuncMinMaxIS1_E7ProtoLLLi0ELi2ELi0EEEviiP15ncclDevWorkColl, .Lfunc_end2-_ZN12_GLOBAL__N_17runRingI12rccl_bfloat810FuncMinMaxIS1_E7ProtoLLLi0ELi2ELi0EEEviiP15ncclDevWorkColl
                                        ; -- End function
	.section	.AMDGPU.csdata,"",@progbits
; Function info:
; codeLenInByte = 35184
; NumSgprs: 34
; NumVgprs: 166
; ScratchSize: 0
; MemoryBound: 0
	.text
	.p2align	2                               ; -- Begin function _Z53ncclDevFunc_ReduceScatter_RING_LL_MinMax_f8e5m2_0_0_2v
	.type	_Z53ncclDevFunc_ReduceScatter_RING_LL_MinMax_f8e5m2_0_0_2v,@function
_Z53ncclDevFunc_ReduceScatter_RING_LL_MinMax_f8e5m2_0_0_2v: ; @_Z53ncclDevFunc_ReduceScatter_RING_LL_MinMax_f8e5m2_0_0_2v
; %bb.0:
	s_waitcnt vmcnt(0) expcnt(0) lgkmcnt(0)
	s_mov_b32 s0, s33
	s_mov_b32 s33, s32
	s_or_saveexec_b32 s1, -1
	scratch_store_b32 off, v40, s33         ; 4-byte Folded Spill
	s_mov_b32 exec_lo, s1
	v_writelane_b32 v40, s0, 6
	s_add_i32 s32, s32, 16
	v_writelane_b32 v40, s34, 0
	v_writelane_b32 v40, s35, 1
	;; [unrolled: 1-line block ×6, first 2 shown]
	s_cbranch_execnz .LBB3_7
; %bb.1:
	ds_load_b32 v0, v0
	v_and_b32_e32 v166, 0x3ff, v31
	s_mov_b32 s0, exec_lo
	s_waitcnt lgkmcnt(0)
	s_delay_alu instid0(VALU_DEP_1)
	v_cmpx_lt_i32_e64 v166, v0
	s_cbranch_execz .LBB3_9
; %bb.2:
	s_load_b32 s1, s[8:9], 0x0
	v_mov_b32_e32 v1, 0
	s_waitcnt lgkmcnt(0)
	s_cmp_lt_u32 s12, s1
	s_cselect_b32 s1, 12, 18
	s_delay_alu instid0(SALU_CYCLE_1)
	s_add_u32 s2, s8, s1
	s_addc_u32 s3, s9, 0
	s_mov_b32 s1, 0
	global_load_u16 v1, v1, s[2:3]
	s_cbranch_execnz .LBB3_24
; %bb.3:
	ds_load_b32 v2, v0
	v_mov_b32_e32 v3, v166
	s_mov_b32 s2, 0
                                        ; implicit-def: $vgpr4
	s_waitcnt vmcnt(0) lgkmcnt(0)
	v_mul_lo_u32 v2, v2, v1
	s_branch .LBB3_5
	.p2align	6
.LBB3_4:                                ;   in Loop: Header=BB3_5 Depth=1
	s_or_b32 exec_lo, exec_lo, s3
	v_add_nc_u32_e32 v3, v3, v1
	v_add_nc_u32_e32 v4, v4, v2
	s_delay_alu instid0(VALU_DEP_2) | instskip(SKIP_1) | instid1(SALU_CYCLE_1)
	v_cmp_ge_i32_e32 vcc_lo, v3, v0
	s_or_b32 s1, vcc_lo, s1
	s_and_not1_b32 exec_lo, exec_lo, s1
	s_cbranch_execz .LBB3_9
.LBB3_5:                                ; =>This Inner Loop Header: Depth=1
	ds_load_b32 v5, v4
	s_mov_b32 s3, exec_lo
	s_waitcnt lgkmcnt(0)
	v_and_b32_e32 v5, 0x1000000, v5
	s_delay_alu instid0(VALU_DEP_1)
	v_cmpx_ne_u32_e32 0, v5
	s_cbranch_execz .LBB3_4
; %bb.6:                                ;   in Loop: Header=BB3_5 Depth=1
	ds_load_b64 v[5:6], v4 offset:104
	s_waitcnt lgkmcnt(0)
	flat_load_u8 v5, v[5:6]
	s_waitcnt vmcnt(0) lgkmcnt(0)
	v_dual_mov_b32 v6, s2 :: v_dual_and_b32 v5, 0xffff, v5
	ds_store_b64 v4, v[5:6] offset:104
	s_branch .LBB3_4
.LBB3_7:
	s_trap 2
	s_sendmsg_rtn_b32 s0, sendmsg(MSG_RTN_GET_DOORBELL)
	s_mov_b32 ttmp2, m0
	s_waitcnt lgkmcnt(0)
	s_and_b32 s0, s0, 0x3ff
	s_delay_alu instid0(SALU_CYCLE_1) | instskip(NEXT) | instid1(SALU_CYCLE_1)
	s_bitset1_b32 s0, 10
	s_mov_b32 m0, s0
	s_sendmsg sendmsg(MSG_INTERRUPT)
	s_mov_b32 m0, ttmp2
.LBB3_8:                                ; =>This Inner Loop Header: Depth=1
	s_sethalt 5
	s_branch .LBB3_8
.LBB3_9:
	s_or_b32 exec_lo, exec_lo, s0
	s_waitcnt lgkmcnt(0)
	s_waitcnt_vscnt null, 0x0
	s_barrier
	buffer_gl0_inv
	s_cbranch_execnz .LBB3_22
; %bb.10:
	ds_load_b32 v0, v0
	s_waitcnt lgkmcnt(0)
	v_cmp_gt_i32_e32 vcc_lo, 1, v0
	s_cbranch_vccnz .LBB3_21
; %bb.11:
	s_mov_b32 s36, 0
	s_mov_b64 s[34:35], src_shared_base
.LBB3_12:                               ; =>This Inner Loop Header: Depth=1
	s_cbranch_execnz .LBB3_26
; %bb.13:                               ;   in Loop: Header=BB3_12 Depth=1
	ds_load_b32 v0, v0
	s_cmp_eq_u32 s36, 0
	s_cbranch_scc1 .LBB3_17
; %bb.14:                               ;   in Loop: Header=BB3_12 Depth=1
	s_cbranch_execnz .LBB3_30
; %bb.15:                               ;   in Loop: Header=BB3_12 Depth=1
	s_waitcnt lgkmcnt(0)
	ds_load_b32 v1, v0
	s_waitcnt lgkmcnt(0)
	v_xor_b32_e32 v1, v1, v0
	s_delay_alu instid0(VALU_DEP_1) | instskip(NEXT) | instid1(VALU_DEP_1)
	v_and_b32_e32 v1, 0xff0000, v1
	v_cmp_eq_u32_e32 vcc_lo, 0, v1
	s_cbranch_vccnz .LBB3_17
; %bb.16:                               ;   in Loop: Header=BB3_12 Depth=1
	s_waitcnt_vscnt null, 0x0
	s_barrier
	buffer_gl0_inv
	ds_load_b32 v0, v0
.LBB3_17:                               ;   in Loop: Header=BB3_12 Depth=1
	s_waitcnt lgkmcnt(0)
	v_lshrrev_b32_e32 v0, 11, v0
	s_mov_b32 s37, exec_lo
	s_delay_alu instid0(VALU_DEP_1) | instskip(NEXT) | instid1(VALU_DEP_1)
	v_and_b32_e32 v1, 0x1fe0, v0
	v_cmpx_lt_u32_e64 v166, v1
	s_cbranch_execz .LBB3_19
; %bb.18:                               ;   in Loop: Header=BB3_12 Depth=1
	v_dual_mov_b32 v0, v166 :: v_dual_mov_b32 v3, s35
	s_getpc_b64 s[0:1]
	s_add_u32 s0, s0, _ZN12_GLOBAL__N_17runRingI12rccl_bfloat810FuncMinMaxIS1_E7ProtoLLLi0ELi2ELi0EEEviiP15ncclDevWorkColl@rel32@lo+4
	s_addc_u32 s1, s1, _ZN12_GLOBAL__N_17runRingI12rccl_bfloat810FuncMinMaxIS1_E7ProtoLLLi0ELi2ELi0EEEviiP15ncclDevWorkColl@rel32@hi+12
	s_mov_b64 s[28:29], s[8:9]
	s_mov_b32 s34, s12
	s_swappc_b64 s[30:31], s[0:1]
	s_mov_b32 s12, s34
	s_mov_b64 s[8:9], s[28:29]
.LBB3_19:                               ;   in Loop: Header=BB3_12 Depth=1
	s_or_b32 exec_lo, exec_lo, s37
	s_cbranch_execnz .LBB3_28
; %bb.20:                               ;   in Loop: Header=BB3_12 Depth=1
	ds_load_b32 v0, v0
	s_add_i32 s36, s36, 1
	s_waitcnt lgkmcnt(0)
	v_cmp_lt_i32_e32 vcc_lo, s36, v0
	s_cbranch_vccnz .LBB3_12
.LBB3_21:
	v_readlane_b32 s30, v40, 4
	v_readlane_b32 s31, v40, 5
	;; [unrolled: 1-line block ×7, first 2 shown]
	s_or_saveexec_b32 s1, -1
	scratch_load_b32 v40, off, s33          ; 4-byte Folded Reload
	s_mov_b32 exec_lo, s1
	s_add_i32 s32, s32, -16
	s_mov_b32 s33, s0
	s_waitcnt vmcnt(0)
	s_setpc_b64 s[30:31]
.LBB3_22:
	s_trap 2
	s_sendmsg_rtn_b32 s0, sendmsg(MSG_RTN_GET_DOORBELL)
	s_mov_b32 ttmp2, m0
	s_waitcnt lgkmcnt(0)
	s_and_b32 s0, s0, 0x3ff
	s_delay_alu instid0(SALU_CYCLE_1) | instskip(NEXT) | instid1(SALU_CYCLE_1)
	s_bitset1_b32 s0, 10
	s_mov_b32 m0, s0
	s_sendmsg sendmsg(MSG_INTERRUPT)
	s_mov_b32 m0, ttmp2
.LBB3_23:                               ; =>This Inner Loop Header: Depth=1
	s_sethalt 5
	s_branch .LBB3_23
.LBB3_24:
	s_trap 2
	s_sendmsg_rtn_b32 s0, sendmsg(MSG_RTN_GET_DOORBELL)
	s_mov_b32 ttmp2, m0
	s_waitcnt lgkmcnt(0)
	s_and_b32 s0, s0, 0x3ff
	s_delay_alu instid0(SALU_CYCLE_1) | instskip(NEXT) | instid1(SALU_CYCLE_1)
	s_bitset1_b32 s0, 10
	s_mov_b32 m0, s0
	s_sendmsg sendmsg(MSG_INTERRUPT)
	s_mov_b32 m0, ttmp2
.LBB3_25:                               ; =>This Inner Loop Header: Depth=1
	s_sethalt 5
	s_branch .LBB3_25
.LBB3_26:
	s_trap 2
	s_sendmsg_rtn_b32 s0, sendmsg(MSG_RTN_GET_DOORBELL)
	s_mov_b32 ttmp2, m0
	s_waitcnt lgkmcnt(0)
	s_and_b32 s0, s0, 0x3ff
	s_delay_alu instid0(SALU_CYCLE_1) | instskip(NEXT) | instid1(SALU_CYCLE_1)
	s_bitset1_b32 s0, 10
	s_mov_b32 m0, s0
	s_sendmsg sendmsg(MSG_INTERRUPT)
	s_mov_b32 m0, ttmp2
.LBB3_27:                               ; =>This Inner Loop Header: Depth=1
	s_sethalt 5
	s_branch .LBB3_27
.LBB3_28:
	s_trap 2
	s_sendmsg_rtn_b32 s0, sendmsg(MSG_RTN_GET_DOORBELL)
	s_mov_b32 ttmp2, m0
	s_waitcnt lgkmcnt(0)
	s_and_b32 s0, s0, 0x3ff
	s_delay_alu instid0(SALU_CYCLE_1) | instskip(NEXT) | instid1(SALU_CYCLE_1)
	s_bitset1_b32 s0, 10
	s_mov_b32 m0, s0
	s_sendmsg sendmsg(MSG_INTERRUPT)
	s_mov_b32 m0, ttmp2
.LBB3_29:                               ; =>This Inner Loop Header: Depth=1
	s_sethalt 5
	s_branch .LBB3_29
.LBB3_30:
	s_trap 2
	s_sendmsg_rtn_b32 s0, sendmsg(MSG_RTN_GET_DOORBELL)
	s_mov_b32 ttmp2, m0
	s_waitcnt lgkmcnt(0)
	s_and_b32 s0, s0, 0x3ff
	s_delay_alu instid0(SALU_CYCLE_1) | instskip(NEXT) | instid1(SALU_CYCLE_1)
	s_bitset1_b32 s0, 10
	s_mov_b32 m0, s0
	s_sendmsg sendmsg(MSG_INTERRUPT)
	s_mov_b32 m0, ttmp2
.LBB3_31:                               ; =>This Inner Loop Header: Depth=1
	s_sethalt 5
	s_branch .LBB3_31
.Lfunc_end3:
	.size	_Z53ncclDevFunc_ReduceScatter_RING_LL_MinMax_f8e5m2_0_0_2v, .Lfunc_end3-_Z53ncclDevFunc_ReduceScatter_RING_LL_MinMax_f8e5m2_0_0_2v
                                        ; -- End function
	.section	.AMDGPU.csdata,"",@progbits
; Function info:
; codeLenInByte = 992
; NumSgprs: 40
; NumVgprs: 167
; ScratchSize: 16
; MemoryBound: 0
	.text
	.p2align	2                               ; -- Begin function _ZN12_GLOBAL__N_17runRingI12rccl_bfloat810FuncMinMaxIS1_E7ProtoLLLi0ELi4ELi0EEEviiP15ncclDevWorkColl
	.type	_ZN12_GLOBAL__N_17runRingI12rccl_bfloat810FuncMinMaxIS1_E7ProtoLLLi0ELi4ELi0EEEviiP15ncclDevWorkColl,@function
_ZN12_GLOBAL__N_17runRingI12rccl_bfloat810FuncMinMaxIS1_E7ProtoLLLi0ELi4ELi0EEEviiP15ncclDevWorkColl: ; @_ZN12_GLOBAL__N_17runRingI12rccl_bfloat810FuncMinMaxIS1_E7ProtoLLLi0ELi4ELi0EEEviiP15ncclDevWorkColl
; %bb.0:
	s_waitcnt vmcnt(0) expcnt(0) lgkmcnt(0)
	s_cbranch_execnz .LBB4_15
; %bb.1:
	v_mov_b32_e32 v4, v0
	s_clause 0x2
	flat_load_b32 v0, v[2:3]
	flat_load_b128 v[5:8], v[2:3] offset:72
	flat_load_b64 v[17:18], v[2:3] offset:88
	s_mov_b32 s0, exec_lo
                                        ; implicit-def: $vgpr25_vgpr26
	s_waitcnt vmcnt(2) lgkmcnt(2)
	v_and_b32_e32 v11, 0xff, v0
	v_bfe_u32 v10, v0, 8, 8
	s_delay_alu instid0(VALU_DEP_2) | instskip(SKIP_3) | instid1(VALU_DEP_1)
	v_not_b32_e32 v0, v11
	ds_load_b32 v9, v0
	ds_load_b64 v[23:24], v0
	v_add_nc_u32_e32 v12, v10, v0
	v_ashrrev_i32_e32 v13, 31, v12
	s_waitcnt vmcnt(1) lgkmcnt(3)
	v_mul_lo_u32 v14, v8, v12
	v_mad_u64_u32 v[19:20], null, v7, v12, 0
	s_delay_alu instid0(VALU_DEP_3) | instskip(NEXT) | instid1(VALU_DEP_1)
	v_mul_lo_u32 v12, v7, v13
	v_add3_u32 v66, v20, v12, v14
	s_waitcnt lgkmcnt(1)
	v_readfirstlane_b32 s14, v9
                                        ; implicit-def: $vgpr20_vgpr21
	v_cmpx_ne_u32_e64 v11, v9
	s_xor_b32 s0, exec_lo, s0
	s_cbranch_execz .LBB4_7
; %bb.2:
	s_mov_b32 s1, exec_lo
                                        ; implicit-def: $vgpr20_vgpr21
                                        ; implicit-def: $vgpr25_vgpr26
	v_cmpx_ne_u32_e64 v10, v9
	s_xor_b32 s1, exec_lo, s1
	s_cbranch_execz .LBB4_4
; %bb.3:
	flat_load_b64 v[10:11], v[2:3] offset:96
	v_add_nc_u32_e32 v0, v9, v0
	s_delay_alu instid0(VALU_DEP_1) | instskip(SKIP_2) | instid1(VALU_DEP_3)
	v_ashrrev_i32_e32 v9, 31, v0
	v_mul_lo_u32 v12, v8, v0
	v_mad_u64_u32 v[25:26], null, v7, v0, v[5:6]
	v_mul_lo_u32 v9, v7, v9
	s_delay_alu instid0(VALU_DEP_1)
	v_add3_u32 v26, v12, v26, v9
	s_waitcnt vmcnt(0) lgkmcnt(0)
	v_lshrrev_b64 v[20:21], 17, v[10:11]
.LBB4_4:
	s_and_not1_saveexec_b32 s1, s1
	s_cbranch_execz .LBB4_6
; %bb.5:
	flat_load_b32 v0, v[2:3] offset:100
	v_add_co_u32 v25, vcc_lo, v19, v5
	v_add_co_ci_u32_e32 v26, vcc_lo, v66, v6, vcc_lo
	s_waitcnt vmcnt(1)
	v_dual_mov_b32 v7, v17 :: v_dual_mov_b32 v8, v18
	s_waitcnt vmcnt(0) lgkmcnt(0)
	v_lshrrev_b32_e32 v20, 6, v0
.LBB4_6:
	s_or_b32 exec_lo, exec_lo, s1
.LBB4_7:
	s_and_not1_saveexec_b32 s0, s0
	s_cbranch_execz .LBB4_9
; %bb.8:
	flat_load_b64 v[7:8], v[2:3] offset:96
	v_mov_b32_e32 v25, 0
	v_mov_b32_e32 v26, 0
	s_waitcnt vmcnt(0) lgkmcnt(0)
	v_lshlrev_b64 v[20:21], 4, v[7:8]
	v_dual_mov_b32 v8, v6 :: v_dual_mov_b32 v7, v5
.LBB4_9:
	s_or_b32 exec_lo, exec_lo, s0
	s_load_b32 s0, s[8:9], 0x0
	v_mov_b32_e32 v0, 0
	flat_load_b64 v[54:55], v[2:3] offset:104
	s_mov_b32 s2, 0
	s_waitcnt lgkmcnt(0)
	s_cmp_lt_u32 s12, s0
	s_cselect_b32 s0, 12, 18
	s_delay_alu instid0(SALU_CYCLE_1)
	s_add_u32 s0, s8, s0
	s_addc_u32 s1, s9, 0
	s_clause 0x2
	flat_load_b128 v[9:12], v[2:3] offset:16
	flat_load_u16 v14, v[2:3] offset:8
	flat_load_b32 v13, v[2:3] offset:4
	global_load_u16 v0, v0, s[0:1]
	s_cbranch_execnz .LBB4_17
; %bb.10:
	s_waitcnt vmcnt(0)
	ds_load_b32 v2, v0
	s_waitcnt lgkmcnt(1)
	v_lshrrev_b64 v[13:14], 31, v[13:14]
	s_delay_alu instid0(VALU_DEP_1)
	v_and_b32_e32 v14, 3, v13
	v_and_b32_e32 v13, 31, v4
	s_waitcnt lgkmcnt(0)
	v_cmp_gt_i32_e32 vcc_lo, 0, v2
	v_readfirstlane_b32 s1, v2
	s_cbranch_vccnz .LBB4_19
; %bb.11:
	v_cmp_eq_u32_e32 vcc_lo, 0, v13
	s_cbranch_execnz .LBB4_23
; %bb.12:
	ds_load_b64 v[15:16], v0
	v_mov_b32_e32 v3, 0
	v_and_b32_e32 v21, 0xffff, v14
	s_mov_b32 s2, 1
	s_delay_alu instid0(VALU_DEP_2) | instskip(SKIP_1) | instid1(VALU_DEP_1)
	v_lshlrev_b64 v[2:3], 3, v[2:3]
	s_waitcnt lgkmcnt(0)
	v_add_co_u32 v2, s0, v15, v2
	s_delay_alu instid0(VALU_DEP_1)
	v_add_co_ci_u32_e64 v3, s0, v16, v3, s0
	flat_load_b64 v[2:3], v[2:3]
	s_waitcnt vmcnt(0) lgkmcnt(0)
	v_mad_u64_u32 v[15:16], null, 0xa8, v21, v[2:3]
	s_clause 0x1
	flat_load_b64 v[29:30], v[15:16] offset:504
	flat_load_b64 v[32:33], v[15:16] offset:608
	v_add_co_u32 v2, s0, 0x1f8, v15
	s_delay_alu instid0(VALU_DEP_1) | instskip(NEXT) | instid1(VALU_DEP_1)
	v_add_co_ci_u32_e64 v3, s0, 0, v16, s0
	v_dual_cndmask_b32 v27, 0, v2 :: v_dual_cndmask_b32 v28, 0, v3
	s_cbranch_execz .LBB4_20
.LBB4_13:
	s_trap 2
	s_sendmsg_rtn_b32 s0, sendmsg(MSG_RTN_GET_DOORBELL)
	s_mov_b32 ttmp2, m0
	s_waitcnt lgkmcnt(0)
	s_and_b32 s0, s0, 0x3ff
	s_delay_alu instid0(SALU_CYCLE_1) | instskip(NEXT) | instid1(SALU_CYCLE_1)
	s_bitset1_b32 s0, 10
	s_mov_b32 m0, s0
	s_sendmsg sendmsg(MSG_INTERRUPT)
	s_mov_b32 m0, ttmp2
.LBB4_14:                               ; =>This Inner Loop Header: Depth=1
	s_sethalt 5
	s_branch .LBB4_14
.LBB4_15:
	s_trap 2
	s_sendmsg_rtn_b32 s0, sendmsg(MSG_RTN_GET_DOORBELL)
	s_mov_b32 ttmp2, m0
	s_waitcnt lgkmcnt(0)
	s_and_b32 s0, s0, 0x3ff
	s_delay_alu instid0(SALU_CYCLE_1) | instskip(NEXT) | instid1(SALU_CYCLE_1)
	s_bitset1_b32 s0, 10
	s_mov_b32 m0, s0
	s_sendmsg sendmsg(MSG_INTERRUPT)
	s_mov_b32 m0, ttmp2
.LBB4_16:                               ; =>This Inner Loop Header: Depth=1
	s_sethalt 5
	s_branch .LBB4_16
.LBB4_17:
	s_trap 2
	s_sendmsg_rtn_b32 s0, sendmsg(MSG_RTN_GET_DOORBELL)
	s_mov_b32 ttmp2, m0
	s_waitcnt lgkmcnt(0)
	s_and_b32 s0, s0, 0x3ff
	s_delay_alu instid0(SALU_CYCLE_1) | instskip(NEXT) | instid1(SALU_CYCLE_1)
	s_bitset1_b32 s0, 10
	s_mov_b32 m0, s0
	s_sendmsg sendmsg(MSG_INTERRUPT)
	s_mov_b32 m0, ttmp2
.LBB4_18:                               ; =>This Inner Loop Header: Depth=1
	s_sethalt 5
	s_branch .LBB4_18
.LBB4_19:
	v_mov_b32_e32 v27, 0
	v_mov_b32_e32 v28, 0
                                        ; implicit-def: $vgpr32_vgpr33
                                        ; implicit-def: $vgpr29_vgpr30
	s_cbranch_execnz .LBB4_13
.LBB4_20:
	ds_load_b32 v2, v0
	v_mov_b32_e32 v36, 0
	v_mov_b32_e32 v37, 0
	s_waitcnt lgkmcnt(0)
	v_cmp_gt_i32_e32 vcc_lo, 0, v2
	s_cbranch_vccnz .LBB4_25
; %bb.21:
	s_cbranch_execnz .LBB4_957
; %bb.22:
	ds_load_b64 v[15:16], v0
	v_mov_b32_e32 v3, 0
	s_delay_alu instid0(VALU_DEP_1) | instskip(SKIP_1) | instid1(VALU_DEP_1)
	v_lshlrev_b64 v[2:3], 3, v[2:3]
	s_waitcnt lgkmcnt(0)
	v_add_co_u32 v2, vcc_lo, v15, v2
	s_delay_alu instid0(VALU_DEP_2)
	v_add_co_ci_u32_e32 v3, vcc_lo, v16, v3, vcc_lo
	v_and_b32_e32 v16, 0xffff, v14
	v_cmp_eq_u32_e32 vcc_lo, 0, v13
	flat_load_b64 v[2:3], v[2:3]
	s_waitcnt vmcnt(0) lgkmcnt(0)
	v_mad_u64_u32 v[14:15], null, 0xa8, v16, v[2:3]
	s_clause 0x1
	flat_load_b64 v[38:39], v[14:15]
	flat_load_b64 v[21:22], v[14:15] offset:104
	v_dual_cndmask_b32 v35, 0, v15 :: v_dual_cndmask_b32 v34, 0, v14
	s_branch .LBB4_26
.LBB4_23:
	s_trap 2
	s_sendmsg_rtn_b32 s0, sendmsg(MSG_RTN_GET_DOORBELL)
	s_mov_b32 ttmp2, m0
	s_waitcnt lgkmcnt(0)
	s_and_b32 s0, s0, 0x3ff
	s_delay_alu instid0(SALU_CYCLE_1) | instskip(NEXT) | instid1(SALU_CYCLE_1)
	s_bitset1_b32 s0, 10
	s_mov_b32 m0, s0
	s_sendmsg sendmsg(MSG_INTERRUPT)
	s_mov_b32 m0, ttmp2
.LBB4_24:                               ; =>This Inner Loop Header: Depth=1
	s_sethalt 5
	s_branch .LBB4_24
.LBB4_25:
	s_delay_alu instid0(VALU_DEP_2)
	v_dual_mov_b32 v34, v36 :: v_dual_mov_b32 v35, v37
                                        ; implicit-def: $vgpr21_vgpr22
                                        ; implicit-def: $vgpr38_vgpr39
.LBB4_26:
	v_subrev_nc_u32_e32 v2, 32, v1
	v_cmp_gt_u32_e64 s0, s2, v13
                                        ; implicit-def: $vgpr48_vgpr49
	s_delay_alu instid0(VALU_DEP_2) | instskip(NEXT) | instid1(VALU_DEP_2)
	v_cmp_le_i32_e32 vcc_lo, v2, v4
	s_and_b32 s11, vcc_lo, s0
	s_delay_alu instid0(SALU_CYCLE_1)
	s_and_saveexec_b32 s0, s11
; %bb.27:
	s_clause 0x1
	flat_load_b64 v[36:37], v[27:28] offset:56
	flat_load_b64 v[48:49], v[27:28] offset:104
; %bb.28:
	s_or_b32 exec_lo, exec_lo, s0
	v_mov_b32_e32 v2, 0
	v_mov_b32_e32 v3, 0
	v_cmp_gt_i32_e64 s0, s2, v4
                                        ; implicit-def: $vgpr52_vgpr53
	s_delay_alu instid0(VALU_DEP_2) | instskip(SKIP_1) | instid1(VALU_DEP_3)
	v_dual_mov_b32 v14, v3 :: v_dual_mov_b32 v13, v2
	v_dual_mov_b32 v51, v3 :: v_dual_mov_b32 v50, v2
	s_and_saveexec_b32 s2, s0
	s_cbranch_execz .LBB4_30
; %bb.29:
	flat_load_b64 v[50:51], v[34:35] offset:56
	s_waitcnt vmcnt(0) lgkmcnt(0)
	flat_load_b64 v[52:53], v[50:51] glc dlc
	s_waitcnt vmcnt(0)
	flat_load_b128 v[13:16], v[34:35] offset:96
.LBB4_30:
	s_or_b32 exec_lo, exec_lo, s2
	v_and_b32_e32 v0, 0xffff, v0
	s_mov_b32 s12, exec_lo
	v_cmpx_ne_u64_e32 0, v[7:8]
	s_cbranch_execz .LBB4_945
; %bb.31:
	v_add_co_u32 v2, vcc_lo, v17, v5
	s_ashr_i32 s2, s1, 31
	v_add_co_ci_u32_e32 v3, vcc_lo, v18, v6, vcc_lo
	s_lshr_b32 s2, s2, 29
	s_ashr_i32 s15, s14, 31
	v_add_co_u32 v98, vcc_lo, v2, v19
	s_add_i32 s1, s1, s2
	s_lshl_b64 s[2:3], s[14:15], 2
	v_add_co_ci_u32_e32 v99, vcc_lo, v3, v66, vcc_lo
	v_add_co_u32 v3, vcc_lo, v23, s2
	v_add_co_ci_u32_e32 v5, vcc_lo, s3, v24, vcc_lo
	v_ashrrev_i32_e32 v2, 31, v1
	s_delay_alu instid0(VALU_DEP_3) | instskip(SKIP_1) | instid1(VALU_DEP_4)
	v_add_co_u32 v66, vcc_lo, v3, -4
	v_lshlrev_b32_e32 v101, 3, v4
	v_add_co_ci_u32_e32 v67, vcc_lo, -1, v5, vcc_lo
	v_dual_mov_b32 v130, 0 :: v_dual_and_b32 v5, 31, v31
	v_lshrrev_b32_e32 v6, 27, v2
	s_delay_alu instid0(VALU_DEP_4) | instskip(SKIP_1) | instid1(VALU_DEP_4)
	v_ashrrev_i32_e32 v112, 31, v101
	v_add_co_u32 v114, vcc_lo, v11, v101
	v_cmp_eq_u32_e64 s5, 0, v5
	v_ashrrev_i32_e32 v5, 31, v4
	v_add_nc_u32_e32 v3, v1, v6
	v_dual_mov_b32 v55, 0 :: v_dual_and_b32 v64, 0x1fffff0, v20
	v_add_co_ci_u32_e32 v115, vcc_lo, v12, v112, vcc_lo
	v_add_co_u32 v116, vcc_lo, v9, v101
	v_lshlrev_b64 v[17:18], 4, v[4:5]
	v_add_co_ci_u32_e32 v117, vcc_lo, v10, v112, vcc_lo
	v_dual_mov_b32 v9, 0 :: v_dual_lshlrev_b32 v118, 6, v1
	v_mov_b32_e32 v10, 0
	v_ashrrev_i32_e32 v100, 5, v3
	v_and_b32_e32 v3, 1, v54
	v_dual_mov_b32 v65, v55 :: v_dual_lshlrev_b32 v102, 3, v1
	v_add_co_u32 v5, vcc_lo, v114, v25
	v_add_co_ci_u32_e32 v6, vcc_lo, v115, v26, vcc_lo
	s_ashr_i32 s4, s1, 3
	s_waitcnt vmcnt(1) lgkmcnt(1)
	v_add_co_u32 v119, vcc_lo, v38, v17
	s_ashr_i32 s13, s1, 7
	v_cmp_ne_u64_e64 s1, 0, v[50:51]
	s_waitcnt vmcnt(0) lgkmcnt(0)
	v_cmp_ne_u64_e64 s2, 0, v[13:14]
	v_cmp_eq_u32_e64 s6, 1, v3
	v_cmp_ne_u64_e64 s7, 0, v[36:37]
	v_lshlrev_b64 v[68:69], 4, v[1:2]
	v_mov_b32_e32 v2, v9
	s_and_b32 s15, s4, -16
	v_cmp_ne_u32_e64 s3, 32, v1
	v_cmp_ne_u32_e64 s4, v0, v1
	v_ashrrev_i32_e32 v103, 31, v100
	v_ashrrev_i32_e32 v113, 31, v102
	v_add_co_ci_u32_e32 v128, vcc_lo, v39, v18, vcc_lo
	v_mov_b32_e32 v129, 1
	v_mov_b32_e32 v3, v10
	s_cmp_gt_i32 s14, 2
	s_mov_b32 s16, 0
	s_cselect_b32 s17, -1, 0
.LBB4_32:                               ; =>This Loop Header: Depth=1
                                        ;     Child Loop BB4_39 Depth 2
                                        ;     Child Loop BB4_59 Depth 2
	;; [unrolled: 1-line block ×5, first 2 shown]
                                        ;       Child Loop BB4_92 Depth 3
                                        ;       Child Loop BB4_112 Depth 3
	;; [unrolled: 1-line block ×3, first 2 shown]
                                        ;         Child Loop BB4_138 Depth 4
                                        ;       Child Loop BB4_508 Depth 3
                                        ;       Child Loop BB4_525 Depth 3
                                        ;     Child Loop BB4_530 Depth 2
                                        ;       Child Loop BB4_538 Depth 3
                                        ;     Child Loop BB4_928 Depth 2
	s_waitcnt vmcnt(0) lgkmcnt(0)
	flat_load_b32 v19, v[66:67]
	v_sub_co_u32 v17, vcc_lo, v7, v9
	v_sub_co_ci_u32_e32 v18, vcc_lo, v8, v10, vcc_lo
	s_delay_alu instid0(VALU_DEP_1) | instskip(SKIP_1) | instid1(VALU_DEP_1)
	v_cmp_lt_u64_e32 vcc_lo, v[64:65], v[17:18]
	v_cndmask_b32_e32 v20, v17, v64, vcc_lo
	v_lshl_add_u32 v17, v20, 1, 14
	s_delay_alu instid0(VALU_DEP_1)
	v_and_b32_e32 v132, 0x7fffff0, v17
	s_and_saveexec_b32 s8, s1
	s_cbranch_execz .LBB4_50
; %bb.33:                               ;   in Loop: Header=BB4_32 Depth=1
	v_add_co_u32 v17, vcc_lo, v15, 1
	v_add_co_ci_u32_e32 v18, vcc_lo, 0, v16, vcc_lo
	v_add_co_u32 v70, vcc_lo, v52, 8
	v_add_co_ci_u32_e32 v71, vcc_lo, 0, v53, vcc_lo
	s_mov_b32 s9, exec_lo
	s_delay_alu instid0(VALU_DEP_1)
	v_cmpx_lt_u64_e64 v[70:71], v[17:18]
	s_cbranch_execz .LBB4_47
; %bb.34:                               ;   in Loop: Header=BB4_32 Depth=1
	s_sleep 1
	flat_load_b64 v[52:53], v[50:51] glc
	v_cmp_eq_u32_e32 vcc_lo, 0, v130
	s_and_saveexec_b32 s10, vcc_lo
	s_cbranch_execz .LBB4_46
; %bb.35:                               ;   in Loop: Header=BB4_32 Depth=1
	v_cndmask_b32_e64 v16, 0, 1, vcc_lo
	s_mov_b32 s18, 0
                                        ; implicit-def: $sgpr19
	s_branch .LBB4_39
.LBB4_36:                               ;   in Loop: Header=BB4_39 Depth=2
	s_or_b32 exec_lo, exec_lo, s22
	s_delay_alu instid0(SALU_CYCLE_1)
	s_or_not1_b32 s22, s23, exec_lo
.LBB4_37:                               ;   in Loop: Header=BB4_39 Depth=2
	s_or_b32 exec_lo, exec_lo, s21
	s_xor_b32 s21, s22, -1
	s_and_not1_b32 s19, s19, exec_lo
	s_and_b32 s21, s21, exec_lo
	s_delay_alu instid0(SALU_CYCLE_1)
	s_or_b32 s19, s19, s21
.LBB4_38:                               ;   in Loop: Header=BB4_39 Depth=2
	s_or_b32 exec_lo, exec_lo, s20
	s_delay_alu instid0(SALU_CYCLE_1) | instskip(NEXT) | instid1(SALU_CYCLE_1)
	s_and_b32 s20, exec_lo, s19
	s_or_b32 s18, s20, s18
	s_delay_alu instid0(SALU_CYCLE_1)
	s_and_not1_b32 exec_lo, exec_lo, s18
	s_cbranch_execz .LBB4_45
.LBB4_39:                               ;   Parent Loop BB4_32 Depth=1
                                        ; =>  This Inner Loop Header: Depth=2
	s_waitcnt vmcnt(0) lgkmcnt(0)
	v_add_co_u32 v70, vcc_lo, v52, 8
	v_add_co_ci_u32_e32 v71, vcc_lo, 0, v53, vcc_lo
	v_mov_b32_e32 v130, 0
	s_or_b32 s19, s19, exec_lo
	s_mov_b32 s20, exec_lo
	s_delay_alu instid0(VALU_DEP_2)
	v_cmpx_lt_u64_e64 v[70:71], v[17:18]
	s_cbranch_execz .LBB4_38
; %bb.40:                               ;   in Loop: Header=BB4_39 Depth=2
	s_sleep 1
	flat_load_b64 v[52:53], v[50:51] glc
	v_add_nc_u32_e32 v16, 1, v16
	v_mov_b32_e32 v130, 0
	s_mov_b32 s22, -1
	s_mov_b32 s21, exec_lo
	s_delay_alu instid0(VALU_DEP_2)
	v_cmpx_eq_u32_e32 0x2710, v16
	s_cbranch_execz .LBB4_37
; %bb.41:                               ;   in Loop: Header=BB4_39 Depth=2
	s_cbranch_execnz .LBB4_963
; %bb.42:                               ;   in Loop: Header=BB4_39 Depth=2
	ds_load_b64 v[70:71], v0
	v_mov_b32_e32 v16, 0
	v_mov_b32_e32 v130, 0
	s_mov_b32 s23, -1
	s_mov_b32 s22, exec_lo
	s_waitcnt vmcnt(0) lgkmcnt(0)
	s_waitcnt_vscnt null, 0x0
	flat_load_b32 v54, v[70:71] glc
	s_waitcnt vmcnt(0) lgkmcnt(0)
	buffer_gl1_inv
	buffer_gl0_inv
	v_cmpx_ne_u32_e32 0, v54
	s_cbranch_execz .LBB4_36
; %bb.43:                               ;   in Loop: Header=BB4_39 Depth=2
	ds_store_b32 v0, v54
	s_cbranch_execnz .LBB4_988
; %bb.44:                               ;   in Loop: Header=BB4_39 Depth=2
	v_mov_b32_e32 v130, 1
	s_xor_b32 s23, exec_lo, -1
	s_branch .LBB4_36
.LBB4_45:                               ;   in Loop: Header=BB4_32 Depth=1
	s_or_b32 exec_lo, exec_lo, s18
.LBB4_46:                               ;   in Loop: Header=BB4_32 Depth=1
	s_delay_alu instid0(SALU_CYCLE_1)
	s_or_b32 exec_lo, exec_lo, s10
.LBB4_47:                               ;   in Loop: Header=BB4_32 Depth=1
	s_delay_alu instid0(SALU_CYCLE_1)
	s_or_b32 exec_lo, exec_lo, s9
	s_and_saveexec_b32 s9, s2
	s_cbranch_execz .LBB4_49
; %bb.48:                               ;   in Loop: Header=BB4_32 Depth=1
	v_and_b32_e32 v54, 0x7ffffff8, v15
	v_and_b32_e32 v16, 7, v15
	s_delay_alu instid0(VALU_DEP_2) | instskip(NEXT) | instid1(VALU_DEP_2)
	v_cmp_eq_u64_e32 vcc_lo, 0x7ffffff8, v[54:55]
	v_mad_u64_u32 v[70:71], null, v16, 24, v[13:14]
	v_cndmask_b32_e64 v15, v132, s15, vcc_lo
	s_delay_alu instid0(VALU_DEP_1)
	v_ashrrev_i32_e32 v16, 31, v15
	flat_store_b64 v[70:71], v[15:16] offset:8 dlc
	s_waitcnt_vscnt null, 0x0
.LBB4_49:                               ;   in Loop: Header=BB4_32 Depth=1
	s_or_b32 exec_lo, exec_lo, s9
	v_dual_mov_b32 v15, v17 :: v_dual_mov_b32 v16, v18
.LBB4_50:                               ;   in Loop: Header=BB4_32 Depth=1
	s_or_b32 exec_lo, exec_lo, s8
	s_and_saveexec_b32 s8, s3
	s_cbranch_execz .LBB4_72
; %bb.51:                               ;   in Loop: Header=BB4_32 Depth=1
	s_and_saveexec_b32 s9, s4
	s_delay_alu instid0(SALU_CYCLE_1)
	s_xor_b32 s9, exec_lo, s9
	s_cbranch_execz .LBB4_69
; %bb.52:                               ;   in Loop: Header=BB4_32 Depth=1
	s_and_saveexec_b32 s10, s5
	s_cbranch_execz .LBB4_68
; %bb.53:                               ;   in Loop: Header=BB4_32 Depth=1
	s_mov_b32 s19, exec_lo
	s_mov_b32 s18, exec_lo
	v_mbcnt_lo_u32_b32 v17, s19, 0
	s_waitcnt vmcnt(0) lgkmcnt(0)
	s_waitcnt_vscnt null, 0x0
	buffer_gl1_inv
	buffer_gl0_inv
	v_cmpx_eq_u32_e32 0, v17
	s_cbranch_execz .LBB4_55
; %bb.54:                               ;   in Loop: Header=BB4_32 Depth=1
	s_bcnt1_i32_b32 s19, s19
	s_delay_alu instid0(SALU_CYCLE_1)
	v_mov_b32_e32 v54, s19
	ds_add_u64 v0, v[54:55]
	s_cbranch_execnz .LBB4_982
.LBB4_55:                               ;   in Loop: Header=BB4_32 Depth=1
	s_or_b32 exec_lo, exec_lo, s18
	s_cbranch_execnz .LBB4_969
; %bb.56:                               ;   in Loop: Header=BB4_32 Depth=1
	ds_load_b64 v[17:18], v0
	v_add_co_u32 v2, vcc_lo, v2, v100
	v_add_co_ci_u32_e32 v3, vcc_lo, v3, v103, vcc_lo
	s_mov_b32 s18, exec_lo
	s_waitcnt lgkmcnt(0)
	s_delay_alu instid0(VALU_DEP_1)
	v_cmpx_lt_u64_e64 v[17:18], v[2:3]
	s_cbranch_execz .LBB4_67
; %bb.57:                               ;   in Loop: Header=BB4_32 Depth=1
	s_mov_b32 s19, 0
	s_mov_b32 s22, 0
                                        ; implicit-def: $sgpr20
                                        ; implicit-def: $sgpr21
	s_branch .LBB4_59
.LBB4_58:                               ;   in Loop: Header=BB4_59 Depth=2
	s_or_b32 exec_lo, exec_lo, s25
	s_delay_alu instid0(SALU_CYCLE_1) | instskip(NEXT) | instid1(SALU_CYCLE_1)
	s_and_b32 s23, exec_lo, s24
	s_or_b32 s19, s23, s19
	s_and_not1_b32 s20, s20, exec_lo
	s_and_b32 s23, s21, exec_lo
	s_delay_alu instid0(SALU_CYCLE_1)
	s_or_b32 s20, s20, s23
	s_and_not1_b32 exec_lo, exec_lo, s19
	s_cbranch_execz .LBB4_65
.LBB4_59:                               ;   Parent Loop BB4_32 Depth=1
                                        ; =>  This Inner Loop Header: Depth=2
	s_add_i32 s22, s22, 1
                                        ; implicit-def: $sgpr24
	s_delay_alu instid0(SALU_CYCLE_1) | instskip(SKIP_1) | instid1(SALU_CYCLE_1)
	s_cmpk_lg_i32 s22, 0x2710
	s_cselect_b32 s23, -1, 0
	s_and_b32 vcc_lo, exec_lo, s23
	s_cbranch_vccz .LBB4_63
.LBB4_60:                               ;   in Loop: Header=BB4_59 Depth=2
	s_and_not1_b32 s21, s21, exec_lo
	s_and_b32 s25, s24, exec_lo
	s_mov_b32 s24, -1
	s_or_b32 s21, s21, s25
	s_and_saveexec_b32 s25, s23
	s_cbranch_execz .LBB4_58
; %bb.61:                               ;   in Loop: Header=BB4_59 Depth=2
	s_sleep 1
	s_cbranch_execnz .LBB4_996
; %bb.62:                               ;   in Loop: Header=BB4_59 Depth=2
	ds_load_b64 v[17:18], v0
	s_and_not1_b32 s21, s21, exec_lo
	s_waitcnt lgkmcnt(0)
	v_cmp_ge_u64_e32 vcc_lo, v[17:18], v[2:3]
	s_or_not1_b32 s24, vcc_lo, exec_lo
	s_branch .LBB4_58
.LBB4_63:                               ;   in Loop: Header=BB4_59 Depth=2
	s_cbranch_execnz .LBB4_1004
; %bb.64:                               ;   in Loop: Header=BB4_59 Depth=2
	ds_load_b64 v[17:18], v0
	s_and_not1_b32 s23, s23, exec_lo
	s_mov_b32 s22, 0
	s_mov_b32 s24, -1
	s_waitcnt lgkmcnt(0)
	flat_load_b32 v17, v[17:18] glc
	s_waitcnt vmcnt(0) lgkmcnt(0)
	buffer_gl1_inv
	buffer_gl0_inv
	v_cmp_eq_u32_e32 vcc_lo, 0, v17
	s_and_b32 s25, vcc_lo, exec_lo
	s_delay_alu instid0(SALU_CYCLE_1)
	s_or_b32 s23, s23, s25
	s_branch .LBB4_60
.LBB4_65:                               ;   in Loop: Header=BB4_32 Depth=1
	s_or_b32 exec_lo, exec_lo, s19
	s_and_saveexec_b32 s19, s20
	s_delay_alu instid0(SALU_CYCLE_1)
	s_xor_b32 s19, exec_lo, s19
	s_cbranch_execz .LBB4_67
; %bb.66:                               ;   in Loop: Header=BB4_32 Depth=1
	ds_store_b32 v0, v129
	s_cbranch_execnz .LBB4_1029
.LBB4_67:                               ;   in Loop: Header=BB4_32 Depth=1
	s_or_b32 exec_lo, exec_lo, s18
	;;#ASMSTART
	s_wakeup
	;;#ASMEND
.LBB4_68:                               ;   in Loop: Header=BB4_32 Depth=1
	s_or_b32 exec_lo, exec_lo, s10
.LBB4_69:                               ;   in Loop: Header=BB4_32 Depth=1
	s_and_not1_saveexec_b32 s9, s9
	s_cbranch_execz .LBB4_71
; %bb.70:                               ;   in Loop: Header=BB4_32 Depth=1
	s_waitcnt vmcnt(0) lgkmcnt(0)
	s_waitcnt_vscnt null, 0x0
	buffer_gl1_inv
	buffer_gl0_inv
	s_barrier
.LBB4_71:                               ;   in Loop: Header=BB4_32 Depth=1
	s_or_b32 exec_lo, exec_lo, s9
.LBB4_72:                               ;   in Loop: Header=BB4_32 Depth=1
	s_delay_alu instid0(SALU_CYCLE_1) | instskip(SKIP_2) | instid1(VALU_DEP_2)
	s_or_b32 exec_lo, exec_lo, s8
	v_sub_nc_u32_e32 v131, v20, v101
	v_mov_b32_e32 v70, v4
	v_cmp_lt_i32_e64 s8, 0, v131
	s_delay_alu instid0(VALU_DEP_1)
	s_and_saveexec_b32 s10, s8
	s_cbranch_execz .LBB4_80
; %bb.73:                               ;   in Loop: Header=BB4_32 Depth=1
	v_dual_mov_b32 v70, v21 :: v_dual_and_b32 v17, 7, v21
	s_waitcnt vmcnt(0) lgkmcnt(0)
	v_ashrrev_i32_e32 v20, 31, v19
	v_mad_u64_u32 v[80:81], null, v98, v19, v[5:6]
	s_delay_alu instid0(VALU_DEP_3) | instskip(SKIP_1) | instid1(VALU_DEP_4)
	v_mul_lo_u32 v17, v17, s13
	v_mul_lo_u32 v82, v99, v19
	;; [unrolled: 1-line block ×4, first 2 shown]
	v_add_co_u32 v71, vcc_lo, 0, 0
	v_mov_b32_e32 v54, v131
	s_mov_b32 s18, 0
	v_ashrrev_i32_e32 v18, 31, v17
	v_add3_u32 v81, v82, v81, v84
	v_add_lshl_u32 v86, v5, v83, 3
	s_delay_alu instid0(VALU_DEP_3) | instskip(SKIP_2) | instid1(VALU_DEP_3)
	v_lshlrev_b64 v[19:20], 4, v[17:18]
	v_add_co_ci_u32_e32 v18, vcc_lo, 1, v70, vcc_lo
	v_mov_b32_e32 v70, v4
	v_add_co_u32 v82, vcc_lo, v119, v19
	s_delay_alu instid0(VALU_DEP_4)
	v_add_co_ci_u32_e32 v83, vcc_lo, v128, v20, vcc_lo
	s_set_inst_prefetch_distance 0x1
	s_branch .LBB4_75
	.p2align	6
.LBB4_74:                               ;   in Loop: Header=BB4_75 Depth=2
	s_or_b32 exec_lo, exec_lo, s9
	s_waitcnt vmcnt(0) lgkmcnt(0)
	v_alignbit_b32 v17, v96, v17, v86
	v_alignbit_b32 v19, v87, v96, v86
	v_mov_b32_e32 v20, v18
	v_sub_nc_u32_e32 v54, v54, v102
	v_add_co_u32 v80, vcc_lo, v80, v102
	v_or_b32_e32 v17, v71, v17
	v_or_b32_e32 v19, v71, v19
	v_add_co_ci_u32_e32 v81, vcc_lo, v81, v113, vcc_lo
	v_cmp_gt_i32_e32 vcc_lo, 1, v54
	v_add_nc_u32_e32 v70, v70, v1
	global_store_b128 v[82:83], v[17:20], off
	v_add_co_u32 v82, s9, v82, v68
	v_add_nc_u32_e32 v86, v86, v118
	v_add_co_ci_u32_e64 v83, s9, v83, v69, s9
	s_or_b32 s18, vcc_lo, s18
	s_delay_alu instid0(SALU_CYCLE_1)
	s_and_not1_b32 exec_lo, exec_lo, s18
	s_cbranch_execz .LBB4_79
.LBB4_75:                               ;   Parent Loop BB4_32 Depth=1
                                        ; =>  This Inner Loop Header: Depth=2
	v_dual_mov_b32 v20, v81 :: v_dual_and_b32 v19, -4, v80
	v_min_u32_e32 v84, 8, v54
	v_dual_mov_b32 v96, 0 :: v_dual_and_b32 v85, 3, v80
	v_mov_b32_e32 v87, 0
	flat_load_b32 v17, v[19:20] glc
	v_add_co_u32 v84, s9, v85, v84
	s_delay_alu instid0(VALU_DEP_1) | instskip(SKIP_1) | instid1(VALU_DEP_1)
	v_add_co_ci_u32_e64 v85, null, 0, 0, s9
	s_mov_b32 s9, exec_lo
	v_cmpx_lt_u64_e32 4, v[84:85]
	s_cbranch_execz .LBB4_77
; %bb.76:                               ;   in Loop: Header=BB4_75 Depth=2
	flat_load_b32 v96, v[19:20] offset:4 glc
.LBB4_77:                               ;   in Loop: Header=BB4_75 Depth=2
	s_or_b32 exec_lo, exec_lo, s9
	s_delay_alu instid0(SALU_CYCLE_1)
	s_mov_b32 s9, exec_lo
	v_cmpx_lt_u64_e32 8, v[84:85]
	s_cbranch_execz .LBB4_74
; %bb.78:                               ;   in Loop: Header=BB4_75 Depth=2
	flat_load_b32 v87, v[19:20] offset:8 glc
	s_branch .LBB4_74
.LBB4_79:                               ;   in Loop: Header=BB4_32 Depth=1
	s_set_inst_prefetch_distance 0x2
	s_or_b32 exec_lo, exec_lo, s18
.LBB4_80:                               ;   in Loop: Header=BB4_32 Depth=1
	s_delay_alu instid0(SALU_CYCLE_1) | instskip(SKIP_2) | instid1(VALU_DEP_2)
	s_or_b32 exec_lo, exec_lo, s10
	v_and_b32_e32 v54, 0x7ffffff8, v21
	v_cmp_gt_i32_e64 s9, s13, v70
	v_cmp_eq_u64_e32 vcc_lo, 0x7ffffff8, v[54:55]
	s_delay_alu instid0(VALU_DEP_2) | instskip(NEXT) | instid1(SALU_CYCLE_1)
	s_and_b32 s9, vcc_lo, s9
	s_and_saveexec_b32 s10, s9
	s_cbranch_execz .LBB4_83
; %bb.81:                               ;   in Loop: Header=BB4_32 Depth=1
	v_dual_mov_b32 v54, v21 :: v_dual_and_b32 v17, 7, v21
	v_ashrrev_i32_e32 v71, 31, v70
	s_mov_b32 s18, 0
	s_delay_alu instid0(VALU_DEP_2) | instskip(SKIP_1) | instid1(VALU_DEP_2)
	v_mul_lo_u32 v17, v17, s13
	s_waitcnt vmcnt(0) lgkmcnt(0)
	v_lshlrev_b64 v[19:20], 4, v[70:71]
	s_delay_alu instid0(VALU_DEP_2) | instskip(NEXT) | instid1(VALU_DEP_1)
	v_ashrrev_i32_e32 v18, 31, v17
	v_lshlrev_b64 v[17:18], 4, v[17:18]
	s_delay_alu instid0(VALU_DEP_1) | instskip(NEXT) | instid1(VALU_DEP_2)
	v_add_co_u32 v19, vcc_lo, v19, v17
	v_add_co_ci_u32_e32 v20, vcc_lo, v20, v18, vcc_lo
	v_add_co_u32 v17, vcc_lo, 0, 0
	v_add_co_ci_u32_e32 v18, vcc_lo, 1, v54, vcc_lo
	s_delay_alu instid0(VALU_DEP_4) | instskip(NEXT) | instid1(VALU_DEP_4)
	v_add_co_u32 v80, vcc_lo, v38, v19
	v_add_co_ci_u32_e32 v81, vcc_lo, v39, v20, vcc_lo
.LBB4_82:                               ;   Parent Loop BB4_32 Depth=1
                                        ; =>  This Inner Loop Header: Depth=2
	s_delay_alu instid0(VALU_DEP_4) | instskip(NEXT) | instid1(VALU_DEP_4)
	v_dual_mov_b32 v19, v17 :: v_dual_add_nc_u32 v70, v70, v1
	v_mov_b32_e32 v20, v18
	s_delay_alu instid0(VALU_DEP_2) | instskip(SKIP_2) | instid1(VALU_DEP_1)
	v_cmp_le_i32_e32 vcc_lo, s13, v70
	global_store_b128 v[80:81], v[17:20], off
	v_add_co_u32 v80, s9, v80, v68
	v_add_co_ci_u32_e64 v81, s9, v81, v69, s9
	s_or_b32 s18, vcc_lo, s18
	s_delay_alu instid0(SALU_CYCLE_1)
	s_and_not1_b32 exec_lo, exec_lo, s18
	s_cbranch_execnz .LBB4_82
.LBB4_83:                               ;   in Loop: Header=BB4_32 Depth=1
	s_or_b32 exec_lo, exec_lo, s10
	v_add_co_u32 v133, vcc_lo, v9, v25
	v_add_co_ci_u32_e32 v134, vcc_lo, v10, v26, vcc_lo
	v_add_co_u32 v70, vcc_lo, v21, 1
	v_add_co_ci_u32_e32 v71, vcc_lo, 0, v22, vcc_lo
	s_and_not1_b32 vcc_lo, exec_lo, s17
	s_cbranch_vccnz .LBB4_527
; %bb.84:                               ;   in Loop: Header=BB4_32 Depth=1
	v_add_co_u32 v80, vcc_lo, v114, v133
	v_add_co_ci_u32_e32 v81, vcc_lo, v115, v134, vcc_lo
	v_add_nc_u16 v135, v21, 1
	s_mov_b32 s18, 2
.LBB4_85:                               ;   Parent Loop BB4_32 Depth=1
                                        ; =>  This Loop Header: Depth=2
                                        ;       Child Loop BB4_92 Depth 3
                                        ;       Child Loop BB4_112 Depth 3
	;; [unrolled: 1-line block ×3, first 2 shown]
                                        ;         Child Loop BB4_138 Depth 4
                                        ;       Child Loop BB4_508 Depth 3
                                        ;       Child Loop BB4_525 Depth 3
	s_delay_alu instid0(SALU_CYCLE_1) | instskip(NEXT) | instid1(SALU_CYCLE_1)
	s_sub_i32 s20, s14, s18
	s_ashr_i32 s21, s20, 31
	s_delay_alu instid0(SALU_CYCLE_1) | instskip(NEXT) | instid1(SALU_CYCLE_1)
	s_lshl_b64 s[20:21], s[20:21], 2
	v_add_co_u32 v17, vcc_lo, v23, s20
	v_add_co_ci_u32_e32 v18, vcc_lo, s21, v24, vcc_lo
	s_waitcnt vmcnt(0) lgkmcnt(0)
	flat_load_b32 v19, v[17:18]
	s_and_saveexec_b32 s9, s1
	s_cbranch_execz .LBB4_103
; %bb.86:                               ;   in Loop: Header=BB4_85 Depth=2
	v_add_co_u32 v17, vcc_lo, v15, 1
	v_add_co_ci_u32_e32 v18, vcc_lo, 0, v16, vcc_lo
	v_add_co_u32 v20, vcc_lo, v52, 8
	v_add_co_ci_u32_e32 v21, vcc_lo, 0, v53, vcc_lo
	s_mov_b32 s10, exec_lo
	s_delay_alu instid0(VALU_DEP_1)
	v_cmpx_lt_u64_e64 v[20:21], v[17:18]
	s_cbranch_execz .LBB4_100
; %bb.87:                               ;   in Loop: Header=BB4_85 Depth=2
	s_sleep 1
	flat_load_b64 v[52:53], v[50:51] glc
	v_cmp_eq_u32_e32 vcc_lo, 0, v130
	s_and_saveexec_b32 s19, vcc_lo
	s_cbranch_execz .LBB4_99
; %bb.88:                               ;   in Loop: Header=BB4_85 Depth=2
	v_cndmask_b32_e64 v16, 0, 1, vcc_lo
	s_mov_b32 s20, 0
                                        ; implicit-def: $sgpr21
	s_branch .LBB4_92
.LBB4_89:                               ;   in Loop: Header=BB4_92 Depth=3
	s_or_b32 exec_lo, exec_lo, s24
	s_delay_alu instid0(SALU_CYCLE_1)
	s_or_not1_b32 s24, s25, exec_lo
.LBB4_90:                               ;   in Loop: Header=BB4_92 Depth=3
	s_or_b32 exec_lo, exec_lo, s23
	s_xor_b32 s23, s24, -1
	s_and_not1_b32 s21, s21, exec_lo
	s_and_b32 s23, s23, exec_lo
	s_delay_alu instid0(SALU_CYCLE_1)
	s_or_b32 s21, s21, s23
.LBB4_91:                               ;   in Loop: Header=BB4_92 Depth=3
	s_or_b32 exec_lo, exec_lo, s22
	s_delay_alu instid0(SALU_CYCLE_1) | instskip(NEXT) | instid1(SALU_CYCLE_1)
	s_and_b32 s22, exec_lo, s21
	s_or_b32 s20, s22, s20
	s_delay_alu instid0(SALU_CYCLE_1)
	s_and_not1_b32 exec_lo, exec_lo, s20
	s_cbranch_execz .LBB4_98
.LBB4_92:                               ;   Parent Loop BB4_32 Depth=1
                                        ;     Parent Loop BB4_85 Depth=2
                                        ; =>    This Inner Loop Header: Depth=3
	s_waitcnt vmcnt(0) lgkmcnt(0)
	v_add_co_u32 v20, vcc_lo, v52, 8
	v_add_co_ci_u32_e32 v21, vcc_lo, 0, v53, vcc_lo
	v_mov_b32_e32 v130, 0
	s_or_b32 s21, s21, exec_lo
	s_mov_b32 s22, exec_lo
	s_delay_alu instid0(VALU_DEP_2)
	v_cmpx_lt_u64_e64 v[20:21], v[17:18]
	s_cbranch_execz .LBB4_91
; %bb.93:                               ;   in Loop: Header=BB4_92 Depth=3
	s_sleep 1
	flat_load_b64 v[52:53], v[50:51] glc
	v_add_nc_u32_e32 v16, 1, v16
	v_mov_b32_e32 v130, 0
	s_mov_b32 s24, -1
	s_mov_b32 s23, exec_lo
	s_delay_alu instid0(VALU_DEP_2)
	v_cmpx_eq_u32_e32 0x2710, v16
	s_cbranch_execz .LBB4_90
; %bb.94:                               ;   in Loop: Header=BB4_92 Depth=3
	s_cbranch_execnz .LBB4_965
; %bb.95:                               ;   in Loop: Header=BB4_92 Depth=3
	ds_load_b64 v[20:21], v0
	v_mov_b32_e32 v16, 0
	v_mov_b32_e32 v130, 0
	s_mov_b32 s25, -1
	s_mov_b32 s24, exec_lo
	s_waitcnt vmcnt(0) lgkmcnt(0)
	s_waitcnt_vscnt null, 0x0
	flat_load_b32 v20, v[20:21] glc
	s_waitcnt vmcnt(0) lgkmcnt(0)
	buffer_gl1_inv
	buffer_gl0_inv
	v_cmpx_ne_u32_e32 0, v20
	s_cbranch_execz .LBB4_89
; %bb.96:                               ;   in Loop: Header=BB4_92 Depth=3
	ds_store_b32 v0, v20
	s_cbranch_execnz .LBB4_992
; %bb.97:                               ;   in Loop: Header=BB4_92 Depth=3
	v_mov_b32_e32 v130, 1
	s_xor_b32 s25, exec_lo, -1
	s_branch .LBB4_89
.LBB4_98:                               ;   in Loop: Header=BB4_85 Depth=2
	s_or_b32 exec_lo, exec_lo, s20
.LBB4_99:                               ;   in Loop: Header=BB4_85 Depth=2
	s_delay_alu instid0(SALU_CYCLE_1)
	s_or_b32 exec_lo, exec_lo, s19
.LBB4_100:                              ;   in Loop: Header=BB4_85 Depth=2
	s_delay_alu instid0(SALU_CYCLE_1)
	s_or_b32 exec_lo, exec_lo, s10
	s_and_saveexec_b32 s10, s2
	s_cbranch_execz .LBB4_102
; %bb.101:                              ;   in Loop: Header=BB4_85 Depth=2
	v_and_b32_e32 v54, 0x7ffffff8, v15
	v_and_b32_e32 v16, 7, v15
	s_delay_alu instid0(VALU_DEP_2) | instskip(NEXT) | instid1(VALU_DEP_2)
	v_cmp_eq_u64_e32 vcc_lo, 0x7ffffff8, v[54:55]
	v_mad_u64_u32 v[20:21], null, v16, 24, v[13:14]
	v_cndmask_b32_e64 v15, v132, s15, vcc_lo
	s_delay_alu instid0(VALU_DEP_1)
	v_ashrrev_i32_e32 v16, 31, v15
	flat_store_b64 v[20:21], v[15:16] offset:8 dlc
	s_waitcnt_vscnt null, 0x0
.LBB4_102:                              ;   in Loop: Header=BB4_85 Depth=2
	s_or_b32 exec_lo, exec_lo, s10
	v_dual_mov_b32 v15, v17 :: v_dual_mov_b32 v16, v18
.LBB4_103:                              ;   in Loop: Header=BB4_85 Depth=2
	s_or_b32 exec_lo, exec_lo, s9
	s_and_saveexec_b32 s9, s3
	s_cbranch_execz .LBB4_125
; %bb.104:                              ;   in Loop: Header=BB4_85 Depth=2
	s_and_saveexec_b32 s10, s4
	s_delay_alu instid0(SALU_CYCLE_1)
	s_xor_b32 s10, exec_lo, s10
	s_cbranch_execz .LBB4_122
; %bb.105:                              ;   in Loop: Header=BB4_85 Depth=2
	s_and_saveexec_b32 s19, s5
	s_cbranch_execz .LBB4_121
; %bb.106:                              ;   in Loop: Header=BB4_85 Depth=2
	s_mov_b32 s21, exec_lo
	s_mov_b32 s20, exec_lo
	v_mbcnt_lo_u32_b32 v17, s21, 0
	s_waitcnt vmcnt(0) lgkmcnt(0)
	s_waitcnt_vscnt null, 0x0
	buffer_gl1_inv
	buffer_gl0_inv
	v_cmpx_eq_u32_e32 0, v17
	s_cbranch_execz .LBB4_108
; %bb.107:                              ;   in Loop: Header=BB4_85 Depth=2
	s_bcnt1_i32_b32 s21, s21
	s_delay_alu instid0(SALU_CYCLE_1)
	v_mov_b32_e32 v54, s21
	ds_add_u64 v0, v[54:55]
	s_cbranch_execnz .LBB4_990
.LBB4_108:                              ;   in Loop: Header=BB4_85 Depth=2
	s_or_b32 exec_lo, exec_lo, s20
	s_cbranch_execnz .LBB4_984
; %bb.109:                              ;   in Loop: Header=BB4_85 Depth=2
	ds_load_b64 v[17:18], v0
	v_add_co_u32 v2, vcc_lo, v2, v100
	v_add_co_ci_u32_e32 v3, vcc_lo, v3, v103, vcc_lo
	s_mov_b32 s20, exec_lo
	s_waitcnt lgkmcnt(0)
	s_delay_alu instid0(VALU_DEP_1)
	v_cmpx_lt_u64_e64 v[17:18], v[2:3]
	s_cbranch_execz .LBB4_120
; %bb.110:                              ;   in Loop: Header=BB4_85 Depth=2
	s_mov_b32 s21, 0
	s_mov_b32 s24, 0
                                        ; implicit-def: $sgpr22
                                        ; implicit-def: $sgpr23
	s_branch .LBB4_112
.LBB4_111:                              ;   in Loop: Header=BB4_112 Depth=3
	s_or_b32 exec_lo, exec_lo, s27
	s_delay_alu instid0(SALU_CYCLE_1) | instskip(NEXT) | instid1(SALU_CYCLE_1)
	s_and_b32 s25, exec_lo, s26
	s_or_b32 s21, s25, s21
	s_and_not1_b32 s22, s22, exec_lo
	s_and_b32 s25, s23, exec_lo
	s_delay_alu instid0(SALU_CYCLE_1)
	s_or_b32 s22, s22, s25
	s_and_not1_b32 exec_lo, exec_lo, s21
	s_cbranch_execz .LBB4_118
.LBB4_112:                              ;   Parent Loop BB4_32 Depth=1
                                        ;     Parent Loop BB4_85 Depth=2
                                        ; =>    This Inner Loop Header: Depth=3
	s_add_i32 s24, s24, 1
                                        ; implicit-def: $sgpr26
	s_delay_alu instid0(SALU_CYCLE_1) | instskip(SKIP_1) | instid1(SALU_CYCLE_1)
	s_cmpk_lg_i32 s24, 0x2710
	s_cselect_b32 s25, -1, 0
	s_and_b32 vcc_lo, exec_lo, s25
	s_cbranch_vccz .LBB4_116
.LBB4_113:                              ;   in Loop: Header=BB4_112 Depth=3
	s_and_not1_b32 s23, s23, exec_lo
	s_and_b32 s27, s26, exec_lo
	s_mov_b32 s26, -1
	s_or_b32 s23, s23, s27
	s_and_saveexec_b32 s27, s25
	s_cbranch_execz .LBB4_111
; %bb.114:                              ;   in Loop: Header=BB4_112 Depth=3
	s_sleep 1
	s_cbranch_execnz .LBB4_1008
; %bb.115:                              ;   in Loop: Header=BB4_112 Depth=3
	ds_load_b64 v[17:18], v0
	s_and_not1_b32 s23, s23, exec_lo
	s_waitcnt lgkmcnt(0)
	v_cmp_ge_u64_e32 vcc_lo, v[17:18], v[2:3]
	s_or_not1_b32 s26, vcc_lo, exec_lo
	s_branch .LBB4_111
.LBB4_116:                              ;   in Loop: Header=BB4_112 Depth=3
	s_cbranch_execnz .LBB4_1012
; %bb.117:                              ;   in Loop: Header=BB4_112 Depth=3
	ds_load_b64 v[17:18], v0
	s_and_not1_b32 s25, s25, exec_lo
	s_mov_b32 s24, 0
	s_mov_b32 s26, -1
	s_waitcnt lgkmcnt(0)
	flat_load_b32 v17, v[17:18] glc
	s_waitcnt vmcnt(0) lgkmcnt(0)
	buffer_gl1_inv
	buffer_gl0_inv
	v_cmp_eq_u32_e32 vcc_lo, 0, v17
	s_and_b32 s27, vcc_lo, exec_lo
	s_delay_alu instid0(SALU_CYCLE_1)
	s_or_b32 s25, s25, s27
	s_branch .LBB4_113
.LBB4_118:                              ;   in Loop: Header=BB4_85 Depth=2
	s_or_b32 exec_lo, exec_lo, s21
	s_and_saveexec_b32 s21, s22
	s_delay_alu instid0(SALU_CYCLE_1)
	s_xor_b32 s21, exec_lo, s21
	s_cbranch_execz .LBB4_120
; %bb.119:                              ;   in Loop: Header=BB4_85 Depth=2
	ds_store_b32 v0, v129
	s_cbranch_execnz .LBB4_1033
.LBB4_120:                              ;   in Loop: Header=BB4_85 Depth=2
	s_or_b32 exec_lo, exec_lo, s20
	;;#ASMSTART
	s_wakeup
	;;#ASMEND
.LBB4_121:                              ;   in Loop: Header=BB4_85 Depth=2
	s_or_b32 exec_lo, exec_lo, s19
.LBB4_122:                              ;   in Loop: Header=BB4_85 Depth=2
	s_and_not1_saveexec_b32 s10, s10
	s_cbranch_execz .LBB4_124
; %bb.123:                              ;   in Loop: Header=BB4_85 Depth=2
	s_waitcnt vmcnt(0) lgkmcnt(0)
	s_waitcnt_vscnt null, 0x0
	buffer_gl1_inv
	buffer_gl0_inv
	s_barrier
.LBB4_124:                              ;   in Loop: Header=BB4_85 Depth=2
	s_or_b32 exec_lo, exec_lo, s10
.LBB4_125:                              ;   in Loop: Header=BB4_85 Depth=2
	s_delay_alu instid0(SALU_CYCLE_1)
	s_or_b32 exec_lo, exec_lo, s9
	v_mov_b32_e32 v82, v4
	s_and_saveexec_b32 s19, s8
	s_cbranch_execz .LBB4_499
; %bb.126:                              ;   in Loop: Header=BB4_85 Depth=2
	v_dual_mov_b32 v82, v70 :: v_dual_and_b32 v17, 7, v32
	v_dual_mov_b32 v149, v131 :: v_dual_and_b32 v18, 7, v70
	s_waitcnt vmcnt(0) lgkmcnt(0)
	v_ashrrev_i32_e32 v21, 31, v19
	s_delay_alu instid0(VALU_DEP_3)
	v_mul_lo_u32 v17, v17, s13
	v_mad_u64_u32 v[84:85], null, v98, v19, v[80:81]
	v_mul_lo_u32 v20, v18, s13
	v_mul_lo_u32 v19, v99, v19
	;; [unrolled: 1-line block ×3, first 2 shown]
	v_add_nc_u32_e32 v54, 1, v32
	s_mov_b32 s20, 0
	v_ashrrev_i32_e32 v18, 31, v17
	v_ashrrev_i32_e32 v21, 31, v20
	s_delay_alu instid0(VALU_DEP_4) | instskip(NEXT) | instid1(VALU_DEP_3)
	v_add3_u32 v85, v19, v85, v22
	v_lshlrev_b64 v[17:18], 4, v[17:18]
	s_delay_alu instid0(VALU_DEP_3) | instskip(NEXT) | instid1(VALU_DEP_2)
	v_lshlrev_b64 v[19:20], 4, v[20:21]
	v_add_co_u32 v144, vcc_lo, v29, v17
	s_delay_alu instid0(VALU_DEP_3) | instskip(NEXT) | instid1(VALU_DEP_3)
	v_add_co_ci_u32_e32 v145, vcc_lo, v30, v18, vcc_lo
	v_add_co_u32 v146, vcc_lo, v38, v19
	s_delay_alu instid0(VALU_DEP_4)
	v_add_co_ci_u32_e32 v147, vcc_lo, v39, v20, vcc_lo
	v_add_co_u32 v148, vcc_lo, 0, 0
	v_add_co_ci_u32_e32 v18, vcc_lo, 1, v82, vcc_lo
	v_mov_b32_e32 v82, v4
	s_branch .LBB4_130
.LBB4_127:                              ;   in Loop: Header=BB4_130 Depth=3
	s_or_b32 exec_lo, exec_lo, s9
	s_delay_alu instid0(VALU_DEP_1) | instskip(NEXT) | instid1(VALU_DEP_2)
	v_lshrrev_b32_e32 v21, 21, v21
	v_min_i32_e32 v97, 31, v20
	v_cmp_gt_i32_e32 vcc_lo, 32, v20
	v_lshrrev_b32_e32 v160, 24, v161
	s_delay_alu instid0(VALU_DEP_3) | instskip(NEXT) | instid1(VALU_DEP_2)
	v_lshlrev_b32_e32 v97, 2, v97
	v_dual_cndmask_b32 v21, 3, v21 :: v_dual_and_b32 v160, 0x80, v160
	s_delay_alu instid0(VALU_DEP_2) | instskip(NEXT) | instid1(VALU_DEP_2)
	v_and_b32_e32 v97, 0xfc, v97
	v_and_b32_e32 v161, 3, v21
	v_or_b32_e32 v20, v20, v21
	s_delay_alu instid0(VALU_DEP_2) | instskip(NEXT) | instid1(VALU_DEP_2)
	v_or3_b32 v97, v160, v97, v161
	v_cmp_ne_u32_e32 vcc_lo, 0, v20
	s_delay_alu instid0(VALU_DEP_2) | instskip(NEXT) | instid1(VALU_DEP_1)
	v_lshlrev_b32_e32 v21, 8, v97
	v_cndmask_b32_e32 v20, 0, v21, vcc_lo
.LBB4_128:                              ;   in Loop: Header=BB4_130 Depth=3
	s_or_b32 exec_lo, exec_lo, s21
.LBB4_129:                              ;   in Loop: Header=BB4_130 Depth=3
	s_delay_alu instid0(SALU_CYCLE_1) | instskip(SKIP_1) | instid1(VALU_DEP_2)
	s_or_b32 exec_lo, exec_lo, s10
	v_lshlrev_b32_e32 v19, 8, v19
	v_or_b32_e32 v20, v20, v151
	v_and_b32_e32 v21, 0xff, v83
	v_lshlrev_b32_e32 v22, 8, v22
	v_add_co_u32 v84, vcc_lo, v84, v102
	v_perm_b32 v19, v19, v150, 0xc0c0500
	v_lshlrev_b32_e32 v20, 16, v20
	v_sub_nc_u32_e32 v149, v149, v102
	v_add_co_ci_u32_e32 v85, vcc_lo, v85, v113, vcc_lo
	v_perm_b32 v17, v22, v17, 0xc0c0500
	s_delay_alu instid0(VALU_DEP_4) | instskip(SKIP_2) | instid1(VALU_DEP_2)
	v_or3_b32 v19, v20, v19, v148
	v_dual_mov_b32 v20, v18 :: v_dual_lshlrev_b32 v21, 16, v21
	v_add_nc_u32_e32 v82, v82, v1
	v_lshl_or_b32 v83, v96, 24, v21
	v_add_co_u32 v21, vcc_lo, v146, v86
	v_add_co_ci_u32_e32 v22, vcc_lo, v147, v87, vcc_lo
	v_cmp_gt_i32_e32 vcc_lo, 1, v149
	s_delay_alu instid0(VALU_DEP_4)
	v_or3_b32 v17, v83, v17, v148
	s_or_b32 s20, vcc_lo, s20
	global_store_b128 v[21:22], v[17:20], off
	s_and_not1_b32 exec_lo, exec_lo, s20
	s_cbranch_execz .LBB4_498
.LBB4_130:                              ;   Parent Loop BB4_32 Depth=1
                                        ;     Parent Loop BB4_85 Depth=2
                                        ; =>    This Loop Header: Depth=3
                                        ;         Child Loop BB4_138 Depth 4
	v_dual_mov_b32 v20, v85 :: v_dual_and_b32 v19, -4, v84
	v_min_u32_e32 v21, 8, v149
	v_dual_mov_b32 v151, 0 :: v_dual_and_b32 v22, 3, v84
	v_mov_b32_e32 v150, 0
	flat_load_b32 v17, v[19:20] glc
	v_add_co_u32 v21, s9, v22, v21
	s_delay_alu instid0(VALU_DEP_1) | instskip(SKIP_1) | instid1(VALU_DEP_1)
	v_add_co_ci_u32_e64 v22, null, 0, 0, s9
	s_mov_b32 s9, exec_lo
	v_cmpx_lt_u64_e32 4, v[21:22]
	s_cbranch_execz .LBB4_132
; %bb.131:                              ;   in Loop: Header=BB4_130 Depth=3
	flat_load_b32 v151, v[19:20] offset:4 glc
.LBB4_132:                              ;   in Loop: Header=BB4_130 Depth=3
	s_or_b32 exec_lo, exec_lo, s9
	s_delay_alu instid0(SALU_CYCLE_1)
	s_mov_b32 s9, exec_lo
	v_cmpx_lt_u64_e32 8, v[21:22]
	s_cbranch_execz .LBB4_134
; %bb.133:                              ;   in Loop: Header=BB4_130 Depth=3
	flat_load_b32 v150, v[19:20] offset:8 glc
.LBB4_134:                              ;   in Loop: Header=BB4_130 Depth=3
	s_or_b32 exec_lo, exec_lo, s9
	v_ashrrev_i32_e32 v83, 31, v82
	s_delay_alu instid0(VALU_DEP_1) | instskip(NEXT) | instid1(VALU_DEP_1)
	v_lshlrev_b64 v[86:87], 4, v[82:83]
	v_add_co_u32 v96, vcc_lo, v144, v86
	s_delay_alu instid0(VALU_DEP_2)
	v_add_co_ci_u32_e32 v97, vcc_lo, v145, v87, vcc_lo
	v_cmp_eq_u32_e32 vcc_lo, 0, v130
	;;#ASMSTART
	global_load_b128 v[19:22], v[96:97], off glc slc dlc
s_waitcnt vmcnt(0)

	;;#ASMEND
	s_and_saveexec_b32 s21, vcc_lo
	s_cbranch_execz .LBB4_148
; %bb.135:                              ;   in Loop: Header=BB4_130 Depth=3
	v_cmp_ne_u32_e64 s9, v54, v20
	v_cmp_ne_u32_e64 s10, v54, v22
	v_mov_b32_e32 v130, 0
	s_delay_alu instid0(VALU_DEP_2) | instskip(NEXT) | instid1(SALU_CYCLE_1)
	s_or_b32 s9, s9, s10
	s_and_saveexec_b32 s10, s9
	s_cbranch_execz .LBB4_147
; %bb.136:                              ;   in Loop: Header=BB4_130 Depth=3
	v_cndmask_b32_e64 v83, 0, 1, vcc_lo
	s_mov_b32 s22, 0
                                        ; implicit-def: $sgpr23
                                        ; implicit-def: $sgpr24
	s_branch .LBB4_138
.LBB4_137:                              ;   in Loop: Header=BB4_138 Depth=4
	s_or_b32 exec_lo, exec_lo, s25
	s_delay_alu instid0(SALU_CYCLE_1) | instskip(NEXT) | instid1(SALU_CYCLE_1)
	s_and_b32 s9, exec_lo, s9
	s_or_b32 s22, s9, s22
	s_and_not1_b32 s9, s23, exec_lo
	s_and_b32 s23, s24, exec_lo
	s_delay_alu instid0(SALU_CYCLE_1)
	s_or_b32 s23, s9, s23
	s_and_not1_b32 exec_lo, exec_lo, s22
	s_cbranch_execz .LBB4_146
.LBB4_138:                              ;   Parent Loop BB4_32 Depth=1
                                        ;     Parent Loop BB4_85 Depth=2
                                        ;       Parent Loop BB4_130 Depth=3
                                        ; =>      This Inner Loop Header: Depth=4
	s_delay_alu instid0(VALU_DEP_1)
	v_dual_mov_b32 v130, 0 :: v_dual_add_nc_u32 v83, 1, v83
	s_mov_b32 s9, -1
	s_mov_b32 s26, -1
	s_mov_b32 s25, exec_lo
	;;#ASMSTART
	global_load_b128 v[19:22], v[96:97], off glc slc dlc
s_waitcnt vmcnt(0)

	;;#ASMEND
	v_cmpx_eq_u32_e32 0x2710, v83
	s_cbranch_execz .LBB4_144
; %bb.139:                              ;   in Loop: Header=BB4_138 Depth=4
	s_cbranch_execnz .LBB4_959
; %bb.140:                              ;   in Loop: Header=BB4_138 Depth=4
	ds_load_b64 v[160:161], v0
	v_dual_mov_b32 v83, 0 :: v_dual_mov_b32 v130, 0
	s_mov_b32 s27, -1
	s_mov_b32 s26, exec_lo
	s_waitcnt vmcnt(0) lgkmcnt(0)
	s_waitcnt_vscnt null, 0x0
	flat_load_b32 v160, v[160:161] glc
	s_waitcnt vmcnt(0) lgkmcnt(0)
	buffer_gl1_inv
	buffer_gl0_inv
	v_cmpx_ne_u32_e32 0, v160
	s_cbranch_execz .LBB4_143
; %bb.141:                              ;   in Loop: Header=BB4_138 Depth=4
	ds_store_b32 v0, v160
	s_cbranch_execnz .LBB4_967
; %bb.142:                              ;   in Loop: Header=BB4_138 Depth=4
	v_mov_b32_e32 v130, 1
	s_xor_b32 s27, exec_lo, -1
.LBB4_143:                              ;   in Loop: Header=BB4_138 Depth=4
	s_or_b32 exec_lo, exec_lo, s26
	s_delay_alu instid0(SALU_CYCLE_1)
	s_or_not1_b32 s26, s27, exec_lo
.LBB4_144:                              ;   in Loop: Header=BB4_138 Depth=4
	s_or_b32 exec_lo, exec_lo, s25
	s_delay_alu instid0(SALU_CYCLE_1)
	s_or_b32 s24, s24, exec_lo
	s_and_saveexec_b32 s25, s26
	s_cbranch_execz .LBB4_137
; %bb.145:                              ;   in Loop: Header=BB4_138 Depth=4
	v_cmp_eq_u32_e32 vcc_lo, v54, v20
	v_cmp_eq_u32_e64 s9, v54, v22
	s_and_not1_b32 s24, s24, exec_lo
	s_delay_alu instid0(VALU_DEP_1) | instskip(NEXT) | instid1(SALU_CYCLE_1)
	s_and_b32 s9, vcc_lo, s9
	s_or_not1_b32 s9, s9, exec_lo
	s_branch .LBB4_137
.LBB4_146:                              ;   in Loop: Header=BB4_130 Depth=3
	s_or_b32 exec_lo, exec_lo, s22
	s_xor_b32 s9, s23, -1
	s_delay_alu instid0(SALU_CYCLE_1) | instskip(NEXT) | instid1(SALU_CYCLE_1)
	s_and_saveexec_b32 s22, s9
	s_xor_b32 s9, exec_lo, s22
	s_delay_alu instid0(SALU_CYCLE_1) | instskip(NEXT) | instid1(SALU_CYCLE_1)
	s_and_not1_saveexec_b32 s9, s9
	s_or_b32 exec_lo, exec_lo, s9
.LBB4_147:                              ;   in Loop: Header=BB4_130 Depth=3
	s_delay_alu instid0(SALU_CYCLE_1)
	s_or_b32 exec_lo, exec_lo, s10
.LBB4_148:                              ;   in Loop: Header=BB4_130 Depth=3
	s_delay_alu instid0(SALU_CYCLE_1) | instskip(SKIP_2) | instid1(VALU_DEP_1)
	s_or_b32 exec_lo, exec_lo, s21
	v_lshlrev_b32_e32 v20, 3, v84
                                        ; implicit-def: $vgpr22
	s_waitcnt vmcnt(0) lgkmcnt(0)
	v_alignbit_b32 v96, v151, v17, v20
	s_and_saveexec_b32 s9, s6
	s_delay_alu instid0(SALU_CYCLE_1)
	s_xor_b32 s9, exec_lo, s9
	s_cbranch_execz .LBB4_158
; %bb.149:                              ;   in Loop: Header=BB4_130 Depth=3
	v_and_b32_e32 v22, 0xff, v19
	s_mov_b32 s10, 0
	s_mov_b32 s22, exec_lo
                                        ; implicit-def: $sgpr21
	s_delay_alu instid0(VALU_DEP_1)
	v_cmpx_lt_i16_e32 0x7f, v22
	s_xor_b32 s22, exec_lo, s22
	s_cbranch_execnz .LBB4_370
; %bb.150:                              ;   in Loop: Header=BB4_130 Depth=3
	s_or_saveexec_b32 s22, s22
	v_mov_b32_e32 v17, s21
	s_xor_b32 exec_lo, exec_lo, s22
	s_cbranch_execnz .LBB4_373
.LBB4_151:                              ;   in Loop: Header=BB4_130 Depth=3
	s_or_b32 exec_lo, exec_lo, s22
	s_and_saveexec_b32 s21, s10
	s_cbranch_execz .LBB4_153
.LBB4_152:                              ;   in Loop: Header=BB4_130 Depth=3
	v_bfe_u32 v97, v19, 2, 5
	v_lshlrev_b32_e32 v160, 24, v19
	s_delay_alu instid0(VALU_DEP_2) | instskip(SKIP_1) | instid1(VALU_DEP_1)
	v_cmp_eq_u32_e32 vcc_lo, 0, v97
	v_and_b32_e32 v17, 3, v19
	v_clz_i32_u32_e32 v22, v17
	s_delay_alu instid0(VALU_DEP_1) | instskip(NEXT) | instid1(VALU_DEP_1)
	v_min_u32_e32 v22, 32, v22
	v_subrev_nc_u32_e32 v83, 29, v22
	v_sub_nc_u32_e32 v22, 30, v22
	s_delay_alu instid0(VALU_DEP_1) | instskip(NEXT) | instid1(VALU_DEP_1)
	v_dual_cndmask_b32 v22, v97, v22 :: v_dual_lshlrev_b32 v83, v83, v19
	v_and_b32_e32 v83, 3, v83
	s_delay_alu instid0(VALU_DEP_2) | instskip(NEXT) | instid1(VALU_DEP_2)
	v_lshl_add_u32 v22, v22, 23, 0x37800000
	v_cndmask_b32_e32 v17, v17, v83, vcc_lo
	v_and_b32_e32 v83, 0x80000000, v160
	s_delay_alu instid0(VALU_DEP_2) | instskip(NEXT) | instid1(VALU_DEP_1)
	v_lshlrev_b32_e32 v17, 21, v17
	v_or3_b32 v17, v83, v22, v17
.LBB4_153:                              ;   in Loop: Header=BB4_130 Depth=3
	s_or_b32 exec_lo, exec_lo, s21
	v_and_b32_e32 v83, 0xff, v96
	s_mov_b32 s10, 0
	s_mov_b32 s22, exec_lo
                                        ; implicit-def: $sgpr21
	s_delay_alu instid0(VALU_DEP_1)
	v_cmpx_lt_i16_e32 0x7f, v83
	s_xor_b32 s22, exec_lo, s22
	s_cbranch_execnz .LBB4_374
; %bb.154:                              ;   in Loop: Header=BB4_130 Depth=3
	s_or_saveexec_b32 s22, s22
	v_mov_b32_e32 v22, s21
	s_xor_b32 exec_lo, exec_lo, s22
	s_cbranch_execnz .LBB4_377
.LBB4_155:                              ;   in Loop: Header=BB4_130 Depth=3
	s_or_b32 exec_lo, exec_lo, s22
	s_and_saveexec_b32 s21, s10
	s_cbranch_execz .LBB4_157
.LBB4_156:                              ;   in Loop: Header=BB4_130 Depth=3
	v_bfe_u32 v160, v96, 2, 5
	s_delay_alu instid0(VALU_DEP_1) | instskip(SKIP_1) | instid1(VALU_DEP_1)
	v_cmp_eq_u32_e32 vcc_lo, 0, v160
	v_and_b32_e32 v22, 3, v96
	v_clz_i32_u32_e32 v83, v22
	s_delay_alu instid0(VALU_DEP_1) | instskip(NEXT) | instid1(VALU_DEP_1)
	v_min_u32_e32 v83, 32, v83
	v_subrev_nc_u32_e32 v97, 29, v83
	v_sub_nc_u32_e32 v83, 30, v83
	s_delay_alu instid0(VALU_DEP_2) | instskip(NEXT) | instid1(VALU_DEP_2)
	v_lshlrev_b32_e32 v97, v97, v96
	v_cndmask_b32_e32 v83, v160, v83, vcc_lo
	s_delay_alu instid0(VALU_DEP_2) | instskip(SKIP_1) | instid1(VALU_DEP_3)
	v_and_b32_e32 v97, 3, v97
	v_lshlrev_b32_e32 v161, 24, v96
	v_lshl_add_u32 v83, v83, 23, 0x37800000
	s_delay_alu instid0(VALU_DEP_3) | instskip(NEXT) | instid1(VALU_DEP_3)
	v_cndmask_b32_e32 v22, v22, v97, vcc_lo
	v_and_b32_e32 v97, 0x80000000, v161
	s_delay_alu instid0(VALU_DEP_2) | instskip(NEXT) | instid1(VALU_DEP_1)
	v_lshlrev_b32_e32 v22, 21, v22
	v_or3_b32 v22, v97, v83, v22
.LBB4_157:                              ;   in Loop: Header=BB4_130 Depth=3
	s_or_b32 exec_lo, exec_lo, s21
	s_delay_alu instid0(VALU_DEP_1) | instskip(NEXT) | instid1(VALU_DEP_1)
	v_dual_max_f32 v22, v22, v22 :: v_dual_max_f32 v17, v17, v17
	v_max_f32_e32 v22, v17, v22
.LBB4_158:                              ;   in Loop: Header=BB4_130 Depth=3
	s_and_not1_saveexec_b32 s9, s9
	s_cbranch_execz .LBB4_168
; %bb.159:                              ;   in Loop: Header=BB4_130 Depth=3
	v_and_b32_e32 v22, 0xff, v19
	s_mov_b32 s10, 0
	s_mov_b32 s22, exec_lo
                                        ; implicit-def: $sgpr21
	s_delay_alu instid0(VALU_DEP_1)
	v_cmpx_lt_i16_e32 0x7f, v22
	s_xor_b32 s22, exec_lo, s22
	s_cbranch_execnz .LBB4_378
; %bb.160:                              ;   in Loop: Header=BB4_130 Depth=3
	s_or_saveexec_b32 s22, s22
	v_mov_b32_e32 v17, s21
	s_xor_b32 exec_lo, exec_lo, s22
	s_cbranch_execnz .LBB4_381
.LBB4_161:                              ;   in Loop: Header=BB4_130 Depth=3
	s_or_b32 exec_lo, exec_lo, s22
	s_and_saveexec_b32 s21, s10
	s_cbranch_execz .LBB4_163
.LBB4_162:                              ;   in Loop: Header=BB4_130 Depth=3
	v_bfe_u32 v97, v19, 2, 5
	v_lshlrev_b32_e32 v160, 24, v19
	s_delay_alu instid0(VALU_DEP_2) | instskip(SKIP_1) | instid1(VALU_DEP_1)
	v_cmp_eq_u32_e32 vcc_lo, 0, v97
	v_and_b32_e32 v17, 3, v19
	v_clz_i32_u32_e32 v22, v17
	s_delay_alu instid0(VALU_DEP_1) | instskip(NEXT) | instid1(VALU_DEP_1)
	v_min_u32_e32 v22, 32, v22
	v_subrev_nc_u32_e32 v83, 29, v22
	v_sub_nc_u32_e32 v22, 30, v22
	s_delay_alu instid0(VALU_DEP_1) | instskip(NEXT) | instid1(VALU_DEP_1)
	v_dual_cndmask_b32 v22, v97, v22 :: v_dual_lshlrev_b32 v83, v83, v19
	v_and_b32_e32 v83, 3, v83
	s_delay_alu instid0(VALU_DEP_2) | instskip(NEXT) | instid1(VALU_DEP_2)
	v_lshl_add_u32 v22, v22, 23, 0x37800000
	v_cndmask_b32_e32 v17, v17, v83, vcc_lo
	v_and_b32_e32 v83, 0x80000000, v160
	s_delay_alu instid0(VALU_DEP_2) | instskip(NEXT) | instid1(VALU_DEP_1)
	v_lshlrev_b32_e32 v17, 21, v17
	v_or3_b32 v17, v83, v22, v17
.LBB4_163:                              ;   in Loop: Header=BB4_130 Depth=3
	s_or_b32 exec_lo, exec_lo, s21
	v_and_b32_e32 v83, 0xff, v96
	s_mov_b32 s10, 0
	s_mov_b32 s22, exec_lo
                                        ; implicit-def: $sgpr21
	s_delay_alu instid0(VALU_DEP_1)
	v_cmpx_lt_i16_e32 0x7f, v83
	s_xor_b32 s22, exec_lo, s22
	s_cbranch_execnz .LBB4_382
; %bb.164:                              ;   in Loop: Header=BB4_130 Depth=3
	s_or_saveexec_b32 s22, s22
	v_mov_b32_e32 v22, s21
	s_xor_b32 exec_lo, exec_lo, s22
	s_cbranch_execnz .LBB4_385
.LBB4_165:                              ;   in Loop: Header=BB4_130 Depth=3
	s_or_b32 exec_lo, exec_lo, s22
	s_and_saveexec_b32 s21, s10
	s_cbranch_execz .LBB4_167
.LBB4_166:                              ;   in Loop: Header=BB4_130 Depth=3
	v_bfe_u32 v160, v96, 2, 5
	s_delay_alu instid0(VALU_DEP_1) | instskip(SKIP_1) | instid1(VALU_DEP_1)
	v_cmp_eq_u32_e32 vcc_lo, 0, v160
	v_and_b32_e32 v22, 3, v96
	v_clz_i32_u32_e32 v83, v22
	s_delay_alu instid0(VALU_DEP_1) | instskip(NEXT) | instid1(VALU_DEP_1)
	v_min_u32_e32 v83, 32, v83
	v_subrev_nc_u32_e32 v97, 29, v83
	v_sub_nc_u32_e32 v83, 30, v83
	s_delay_alu instid0(VALU_DEP_2) | instskip(NEXT) | instid1(VALU_DEP_2)
	v_lshlrev_b32_e32 v97, v97, v96
	v_cndmask_b32_e32 v83, v160, v83, vcc_lo
	s_delay_alu instid0(VALU_DEP_2) | instskip(SKIP_1) | instid1(VALU_DEP_3)
	v_and_b32_e32 v97, 3, v97
	v_lshlrev_b32_e32 v161, 24, v96
	v_lshl_add_u32 v83, v83, 23, 0x37800000
	s_delay_alu instid0(VALU_DEP_3) | instskip(NEXT) | instid1(VALU_DEP_3)
	v_cndmask_b32_e32 v22, v22, v97, vcc_lo
	v_and_b32_e32 v97, 0x80000000, v161
	s_delay_alu instid0(VALU_DEP_2) | instskip(NEXT) | instid1(VALU_DEP_1)
	v_lshlrev_b32_e32 v22, 21, v22
	v_or3_b32 v22, v97, v83, v22
.LBB4_167:                              ;   in Loop: Header=BB4_130 Depth=3
	s_or_b32 exec_lo, exec_lo, s21
	s_delay_alu instid0(VALU_DEP_1) | instskip(NEXT) | instid1(VALU_DEP_1)
	v_dual_max_f32 v22, v22, v22 :: v_dual_max_f32 v17, v17, v17
	v_min_f32_e32 v22, v17, v22
.LBB4_168:                              ;   in Loop: Header=BB4_130 Depth=3
	s_or_b32 exec_lo, exec_lo, s9
	s_delay_alu instid0(VALU_DEP_1) | instskip(NEXT) | instid1(VALU_DEP_1)
	v_and_b32_e32 v17, 0x7f800000, v22
	v_cmp_ne_u32_e32 vcc_lo, 0x7f800000, v17
	v_mov_b32_e32 v17, 0x80
	s_and_saveexec_b32 s10, vcc_lo
	s_cbranch_execz .LBB4_176
; %bb.169:                              ;   in Loop: Header=BB4_130 Depth=3
	v_mov_b32_e32 v17, 0
	s_mov_b32 s21, exec_lo
	v_cmpx_ne_u32_e32 0, v22
	s_cbranch_execz .LBB4_175
; %bb.170:                              ;   in Loop: Header=BB4_130 Depth=3
	v_bfe_u32 v17, v22, 23, 8
	v_and_b32_e32 v83, 0x7fffff, v22
	s_delay_alu instid0(VALU_DEP_2) | instskip(SKIP_1) | instid1(VALU_DEP_3)
	v_sub_nc_u32_e32 v97, 0x70, v17
	v_cmp_gt_u32_e32 vcc_lo, 0x71, v17
	v_or_b32_e32 v160, 0x800000, v83
	s_delay_alu instid0(VALU_DEP_3) | instskip(SKIP_2) | instid1(VALU_DEP_3)
	v_cndmask_b32_e32 v97, 0, v97, vcc_lo
	v_cmp_eq_u32_e32 vcc_lo, 0, v17
	v_add_nc_u32_e32 v17, 0xffffff91, v17
	v_cndmask_b32_e64 v97, v97, 0x6f, vcc_lo
	v_cndmask_b32_e32 v83, v160, v83, vcc_lo
	s_delay_alu instid0(VALU_DEP_3) | instskip(NEXT) | instid1(VALU_DEP_3)
	v_cndmask_b32_e64 v17, v17, 0xffffff92, vcc_lo
	v_lshl_add_u32 v160, 0x200000, v97, -1
	s_delay_alu instid0(VALU_DEP_3) | instskip(SKIP_1) | instid1(VALU_DEP_4)
	v_lshrrev_b32_e32 v161, v97, v83
	v_lshlrev_b32_e64 v163, v97, 0x100000
	v_add_nc_u32_e32 v97, v97, v17
	s_delay_alu instid0(VALU_DEP_4) | instskip(NEXT) | instid1(VALU_DEP_4)
	v_and_b32_e32 v83, v160, v83
	v_bfe_u32 v162, v161, 21, 1
	s_delay_alu instid0(VALU_DEP_2) | instskip(NEXT) | instid1(VALU_DEP_2)
	v_cmp_eq_u32_e64 s9, v83, v163
	v_add_nc_u32_e32 v160, -1, v162
	s_delay_alu instid0(VALU_DEP_1) | instskip(SKIP_2) | instid1(VALU_DEP_2)
	v_cndmask_b32_e64 v83, 0, v160, s9
	v_lshrrev_b32_e32 v160, 23, v161
	s_mov_b32 s9, exec_lo
	v_add_nc_u32_e32 v83, v83, v161
	s_delay_alu instid0(VALU_DEP_2) | instskip(NEXT) | instid1(VALU_DEP_2)
	v_xor_b32_e32 v160, 1, v160
	v_and_b32_e32 v17, 0x1fffff, v83
	s_delay_alu instid0(VALU_DEP_1) | instskip(NEXT) | instid1(VALU_DEP_3)
	v_add_nc_u32_e32 v83, v17, v161
                                        ; implicit-def: $vgpr17
	v_cmpx_ne_u32_e64 v97, v160
	s_xor_b32 s9, exec_lo, s9
; %bb.171:                              ;   in Loop: Header=BB4_130 Depth=3
	s_delay_alu instid0(VALU_DEP_2) | instskip(SKIP_2) | instid1(VALU_DEP_2)
	v_cmp_lt_u32_e32 vcc_lo, 0xffffff, v83
	v_sub_nc_u32_e32 v17, v97, v160
	v_cndmask_b32_e64 v97, 0, 1, vcc_lo
	v_add_co_ci_u32_e32 v17, vcc_lo, 0, v17, vcc_lo
	s_delay_alu instid0(VALU_DEP_2)
	v_lshrrev_b32_e32 v83, v97, v83
; %bb.172:                              ;   in Loop: Header=BB4_130 Depth=3
	s_and_not1_saveexec_b32 s9, s9
; %bb.173:                              ;   in Loop: Header=BB4_130 Depth=3
	s_delay_alu instid0(VALU_DEP_1)
	v_bfe_u32 v17, v83, 23, 1
; %bb.174:                              ;   in Loop: Header=BB4_130 Depth=3
	s_or_b32 exec_lo, exec_lo, s9
	v_lshrrev_b32_e32 v83, 21, v83
	s_delay_alu instid0(VALU_DEP_2) | instskip(SKIP_2) | instid1(VALU_DEP_2)
	v_cmp_gt_i32_e32 vcc_lo, 32, v17
	v_lshrrev_b32_e32 v22, 24, v22
	v_min_i32_e32 v97, 31, v17
	v_dual_cndmask_b32 v83, 3, v83 :: v_dual_and_b32 v22, 0x80, v22
	s_delay_alu instid0(VALU_DEP_2) | instskip(NEXT) | instid1(VALU_DEP_2)
	v_lshlrev_b32_e32 v97, 2, v97
	v_or_b32_e32 v17, v17, v83
	s_delay_alu instid0(VALU_DEP_1) | instskip(SKIP_1) | instid1(VALU_DEP_1)
	v_cmp_ne_u32_e32 vcc_lo, 0, v17
	v_and_b32_e32 v160, 3, v83
	v_or3_b32 v22, v97, v22, v160
	s_delay_alu instid0(VALU_DEP_1)
	v_cndmask_b32_e32 v17, 0, v22, vcc_lo
.LBB4_175:                              ;   in Loop: Header=BB4_130 Depth=3
	s_or_b32 exec_lo, exec_lo, s21
.LBB4_176:                              ;   in Loop: Header=BB4_130 Depth=3
	s_delay_alu instid0(SALU_CYCLE_1) | instskip(SKIP_3) | instid1(SALU_CYCLE_1)
	s_or_b32 exec_lo, exec_lo, s10
	v_lshrrev_b16 v83, 8, v19
	v_lshrrev_b16 v22, 8, v96
                                        ; implicit-def: $vgpr97
	s_and_saveexec_b32 s9, s6
	s_xor_b32 s9, exec_lo, s9
	s_cbranch_execz .LBB4_186
; %bb.177:                              ;   in Loop: Header=BB4_130 Depth=3
	s_mov_b32 s10, 0
	s_mov_b32 s22, exec_lo
                                        ; implicit-def: $sgpr21
	v_cmpx_lt_i16_e32 0x7f, v83
	s_xor_b32 s22, exec_lo, s22
	s_cbranch_execnz .LBB4_386
; %bb.178:                              ;   in Loop: Header=BB4_130 Depth=3
	s_or_saveexec_b32 s22, s22
	v_mov_b32_e32 v97, s21
	s_xor_b32 exec_lo, exec_lo, s22
	s_cbranch_execnz .LBB4_389
.LBB4_179:                              ;   in Loop: Header=BB4_130 Depth=3
	s_or_b32 exec_lo, exec_lo, s22
	s_and_saveexec_b32 s21, s10
	s_cbranch_execz .LBB4_181
.LBB4_180:                              ;   in Loop: Header=BB4_130 Depth=3
	v_and_b32_e32 v83, 0xffff, v83
	s_delay_alu instid0(VALU_DEP_1) | instskip(NEXT) | instid1(VALU_DEP_1)
	v_and_b32_e32 v97, 3, v83
	v_clz_i32_u32_e32 v160, v97
	s_delay_alu instid0(VALU_DEP_1) | instskip(NEXT) | instid1(VALU_DEP_1)
	v_min_u32_e32 v160, 32, v160
	v_subrev_nc_u32_e32 v161, 29, v160
	v_sub_nc_u32_e32 v160, 30, v160
	s_delay_alu instid0(VALU_DEP_2) | instskip(SKIP_1) | instid1(VALU_DEP_2)
	v_lshlrev_b32_e32 v161, v161, v83
	v_bfe_u32 v83, v83, 2, 5
	v_and_b32_e32 v161, 3, v161
	s_delay_alu instid0(VALU_DEP_2) | instskip(SKIP_1) | instid1(VALU_DEP_1)
	v_cmp_eq_u32_e32 vcc_lo, 0, v83
	v_dual_cndmask_b32 v83, v83, v160 :: v_dual_lshlrev_b32 v162, 16, v19
	v_dual_cndmask_b32 v97, v97, v161 :: v_dual_and_b32 v160, 0x80000000, v162
	s_delay_alu instid0(VALU_DEP_2) | instskip(NEXT) | instid1(VALU_DEP_2)
	v_lshl_add_u32 v83, v83, 23, 0x37800000
	v_lshlrev_b32_e32 v97, 21, v97
	s_delay_alu instid0(VALU_DEP_1)
	v_or3_b32 v97, v160, v83, v97
.LBB4_181:                              ;   in Loop: Header=BB4_130 Depth=3
	s_or_b32 exec_lo, exec_lo, s21
	s_mov_b32 s10, 0
	s_mov_b32 s22, exec_lo
                                        ; implicit-def: $sgpr21
	v_cmpx_lt_i16_e32 0x7f, v22
	s_xor_b32 s22, exec_lo, s22
	s_cbranch_execnz .LBB4_390
; %bb.182:                              ;   in Loop: Header=BB4_130 Depth=3
	s_or_saveexec_b32 s22, s22
	v_mov_b32_e32 v83, s21
	s_xor_b32 exec_lo, exec_lo, s22
	s_cbranch_execnz .LBB4_393
.LBB4_183:                              ;   in Loop: Header=BB4_130 Depth=3
	s_or_b32 exec_lo, exec_lo, s22
	s_and_saveexec_b32 s21, s10
	s_cbranch_execz .LBB4_185
.LBB4_184:                              ;   in Loop: Header=BB4_130 Depth=3
	v_and_b32_e32 v22, 0xffff, v22
	v_lshlrev_b32_e32 v162, 16, v96
	s_delay_alu instid0(VALU_DEP_2) | instskip(NEXT) | instid1(VALU_DEP_1)
	v_and_b32_e32 v83, 3, v22
	v_clz_i32_u32_e32 v160, v83
	s_delay_alu instid0(VALU_DEP_1) | instskip(NEXT) | instid1(VALU_DEP_1)
	v_min_u32_e32 v160, 32, v160
	v_subrev_nc_u32_e32 v161, 29, v160
	v_sub_nc_u32_e32 v160, 30, v160
	s_delay_alu instid0(VALU_DEP_2) | instskip(SKIP_1) | instid1(VALU_DEP_2)
	v_lshlrev_b32_e32 v161, v161, v22
	v_bfe_u32 v22, v22, 2, 5
	v_and_b32_e32 v161, 3, v161
	s_delay_alu instid0(VALU_DEP_2) | instskip(NEXT) | instid1(VALU_DEP_2)
	v_cmp_eq_u32_e32 vcc_lo, 0, v22
	v_dual_cndmask_b32 v22, v22, v160 :: v_dual_cndmask_b32 v83, v83, v161
	v_and_b32_e32 v160, 0x80000000, v162
	s_delay_alu instid0(VALU_DEP_2) | instskip(NEXT) | instid1(VALU_DEP_3)
	v_lshl_add_u32 v22, v22, 23, 0x37800000
	v_lshlrev_b32_e32 v83, 21, v83
	s_delay_alu instid0(VALU_DEP_1)
	v_or3_b32 v83, v160, v22, v83
.LBB4_185:                              ;   in Loop: Header=BB4_130 Depth=3
	s_or_b32 exec_lo, exec_lo, s21
	s_delay_alu instid0(VALU_DEP_1) | instskip(NEXT) | instid1(VALU_DEP_1)
	v_dual_max_f32 v22, v83, v83 :: v_dual_max_f32 v83, v97, v97
	v_max_f32_e32 v97, v83, v22
                                        ; implicit-def: $vgpr22
                                        ; implicit-def: $vgpr83
.LBB4_186:                              ;   in Loop: Header=BB4_130 Depth=3
	s_and_not1_saveexec_b32 s9, s9
	s_cbranch_execz .LBB4_196
; %bb.187:                              ;   in Loop: Header=BB4_130 Depth=3
	s_mov_b32 s10, 0
	s_mov_b32 s22, exec_lo
                                        ; implicit-def: $sgpr21
	v_cmpx_lt_i16_e32 0x7f, v83
	s_xor_b32 s22, exec_lo, s22
	s_cbranch_execnz .LBB4_394
; %bb.188:                              ;   in Loop: Header=BB4_130 Depth=3
	s_or_saveexec_b32 s22, s22
	v_mov_b32_e32 v97, s21
	s_xor_b32 exec_lo, exec_lo, s22
	s_cbranch_execnz .LBB4_397
.LBB4_189:                              ;   in Loop: Header=BB4_130 Depth=3
	s_or_b32 exec_lo, exec_lo, s22
	s_and_saveexec_b32 s21, s10
	s_cbranch_execz .LBB4_191
.LBB4_190:                              ;   in Loop: Header=BB4_130 Depth=3
	v_and_b32_e32 v83, 0xffff, v83
	s_delay_alu instid0(VALU_DEP_1) | instskip(NEXT) | instid1(VALU_DEP_1)
	v_and_b32_e32 v97, 3, v83
	v_clz_i32_u32_e32 v160, v97
	s_delay_alu instid0(VALU_DEP_1) | instskip(NEXT) | instid1(VALU_DEP_1)
	v_min_u32_e32 v160, 32, v160
	v_subrev_nc_u32_e32 v161, 29, v160
	v_sub_nc_u32_e32 v160, 30, v160
	s_delay_alu instid0(VALU_DEP_2) | instskip(SKIP_1) | instid1(VALU_DEP_2)
	v_lshlrev_b32_e32 v161, v161, v83
	v_bfe_u32 v83, v83, 2, 5
	v_and_b32_e32 v161, 3, v161
	s_delay_alu instid0(VALU_DEP_2) | instskip(SKIP_1) | instid1(VALU_DEP_1)
	v_cmp_eq_u32_e32 vcc_lo, 0, v83
	v_dual_cndmask_b32 v83, v83, v160 :: v_dual_lshlrev_b32 v162, 16, v19
	v_dual_cndmask_b32 v97, v97, v161 :: v_dual_and_b32 v160, 0x80000000, v162
	s_delay_alu instid0(VALU_DEP_2) | instskip(NEXT) | instid1(VALU_DEP_2)
	v_lshl_add_u32 v83, v83, 23, 0x37800000
	v_lshlrev_b32_e32 v97, 21, v97
	s_delay_alu instid0(VALU_DEP_1)
	v_or3_b32 v97, v160, v83, v97
.LBB4_191:                              ;   in Loop: Header=BB4_130 Depth=3
	s_or_b32 exec_lo, exec_lo, s21
	s_mov_b32 s10, 0
	s_mov_b32 s22, exec_lo
                                        ; implicit-def: $sgpr21
	v_cmpx_lt_i16_e32 0x7f, v22
	s_xor_b32 s22, exec_lo, s22
	s_cbranch_execnz .LBB4_398
; %bb.192:                              ;   in Loop: Header=BB4_130 Depth=3
	s_or_saveexec_b32 s22, s22
	v_mov_b32_e32 v83, s21
	s_xor_b32 exec_lo, exec_lo, s22
	s_cbranch_execnz .LBB4_401
.LBB4_193:                              ;   in Loop: Header=BB4_130 Depth=3
	s_or_b32 exec_lo, exec_lo, s22
	s_and_saveexec_b32 s21, s10
	s_cbranch_execz .LBB4_195
.LBB4_194:                              ;   in Loop: Header=BB4_130 Depth=3
	v_and_b32_e32 v22, 0xffff, v22
	v_lshlrev_b32_e32 v162, 16, v96
	s_delay_alu instid0(VALU_DEP_2) | instskip(NEXT) | instid1(VALU_DEP_1)
	v_and_b32_e32 v83, 3, v22
	v_clz_i32_u32_e32 v160, v83
	s_delay_alu instid0(VALU_DEP_1) | instskip(NEXT) | instid1(VALU_DEP_1)
	v_min_u32_e32 v160, 32, v160
	v_subrev_nc_u32_e32 v161, 29, v160
	v_sub_nc_u32_e32 v160, 30, v160
	s_delay_alu instid0(VALU_DEP_2) | instskip(SKIP_1) | instid1(VALU_DEP_2)
	v_lshlrev_b32_e32 v161, v161, v22
	v_bfe_u32 v22, v22, 2, 5
	v_and_b32_e32 v161, 3, v161
	s_delay_alu instid0(VALU_DEP_2) | instskip(NEXT) | instid1(VALU_DEP_2)
	v_cmp_eq_u32_e32 vcc_lo, 0, v22
	v_dual_cndmask_b32 v22, v22, v160 :: v_dual_cndmask_b32 v83, v83, v161
	v_and_b32_e32 v160, 0x80000000, v162
	s_delay_alu instid0(VALU_DEP_2) | instskip(NEXT) | instid1(VALU_DEP_3)
	v_lshl_add_u32 v22, v22, 23, 0x37800000
	v_lshlrev_b32_e32 v83, 21, v83
	s_delay_alu instid0(VALU_DEP_1)
	v_or3_b32 v83, v160, v22, v83
.LBB4_195:                              ;   in Loop: Header=BB4_130 Depth=3
	s_or_b32 exec_lo, exec_lo, s21
	s_delay_alu instid0(VALU_DEP_1) | instskip(NEXT) | instid1(VALU_DEP_1)
	v_dual_max_f32 v22, v83, v83 :: v_dual_max_f32 v83, v97, v97
	v_min_f32_e32 v97, v83, v22
.LBB4_196:                              ;   in Loop: Header=BB4_130 Depth=3
	s_or_b32 exec_lo, exec_lo, s9
	s_delay_alu instid0(VALU_DEP_1) | instskip(NEXT) | instid1(VALU_DEP_1)
	v_and_b32_e32 v22, 0x7f800000, v97
	v_cmp_ne_u32_e32 vcc_lo, 0x7f800000, v22
	v_mov_b32_e32 v22, 0x80
	s_and_saveexec_b32 s10, vcc_lo
	s_cbranch_execz .LBB4_204
; %bb.197:                              ;   in Loop: Header=BB4_130 Depth=3
	v_mov_b32_e32 v22, 0
	s_mov_b32 s21, exec_lo
	v_cmpx_ne_u32_e32 0, v97
	s_cbranch_execz .LBB4_203
; %bb.198:                              ;   in Loop: Header=BB4_130 Depth=3
	v_bfe_u32 v22, v97, 23, 8
	s_delay_alu instid0(VALU_DEP_1) | instskip(SKIP_1) | instid1(VALU_DEP_2)
	v_sub_nc_u32_e32 v160, 0x70, v22
	v_cmp_gt_u32_e32 vcc_lo, 0x71, v22
	v_dual_cndmask_b32 v160, 0, v160 :: v_dual_and_b32 v83, 0x7fffff, v97
	s_delay_alu instid0(VALU_DEP_1) | instskip(SKIP_2) | instid1(VALU_DEP_4)
	v_or_b32_e32 v161, 0x800000, v83
	v_cmp_eq_u32_e32 vcc_lo, 0, v22
	v_add_nc_u32_e32 v22, 0xffffff91, v22
	v_cndmask_b32_e64 v160, v160, 0x6f, vcc_lo
	s_delay_alu instid0(VALU_DEP_4) | instskip(NEXT) | instid1(VALU_DEP_3)
	v_cndmask_b32_e32 v83, v161, v83, vcc_lo
	v_cndmask_b32_e64 v22, v22, 0xffffff92, vcc_lo
	s_delay_alu instid0(VALU_DEP_3) | instskip(NEXT) | instid1(VALU_DEP_3)
	v_lshl_add_u32 v161, 0x200000, v160, -1
	v_lshrrev_b32_e32 v162, v160, v83
	v_lshlrev_b32_e64 v164, v160, 0x100000
	s_delay_alu instid0(VALU_DEP_4) | instskip(NEXT) | instid1(VALU_DEP_4)
	v_add_nc_u32_e32 v160, v160, v22
	v_and_b32_e32 v83, v161, v83
	s_delay_alu instid0(VALU_DEP_4) | instskip(NEXT) | instid1(VALU_DEP_2)
	v_bfe_u32 v163, v162, 21, 1
	v_cmp_eq_u32_e64 s9, v83, v164
	s_delay_alu instid0(VALU_DEP_2) | instskip(NEXT) | instid1(VALU_DEP_1)
	v_add_nc_u32_e32 v161, -1, v163
	v_cndmask_b32_e64 v83, 0, v161, s9
	v_lshrrev_b32_e32 v161, 23, v162
	s_mov_b32 s9, exec_lo
	s_delay_alu instid0(VALU_DEP_2) | instskip(NEXT) | instid1(VALU_DEP_2)
	v_add_nc_u32_e32 v83, v83, v162
	v_xor_b32_e32 v161, 1, v161
	s_delay_alu instid0(VALU_DEP_2) | instskip(NEXT) | instid1(VALU_DEP_1)
	v_and_b32_e32 v22, 0x1fffff, v83
	v_add_nc_u32_e32 v83, v22, v162
                                        ; implicit-def: $vgpr22
	s_delay_alu instid0(VALU_DEP_3)
	v_cmpx_ne_u32_e64 v160, v161
	s_xor_b32 s9, exec_lo, s9
; %bb.199:                              ;   in Loop: Header=BB4_130 Depth=3
	s_delay_alu instid0(VALU_DEP_2) | instskip(SKIP_2) | instid1(VALU_DEP_2)
	v_cmp_lt_u32_e32 vcc_lo, 0xffffff, v83
	v_sub_nc_u32_e32 v22, v160, v161
	v_cndmask_b32_e64 v160, 0, 1, vcc_lo
	v_add_co_ci_u32_e32 v22, vcc_lo, 0, v22, vcc_lo
	s_delay_alu instid0(VALU_DEP_2)
	v_lshrrev_b32_e32 v83, v160, v83
; %bb.200:                              ;   in Loop: Header=BB4_130 Depth=3
	s_and_not1_saveexec_b32 s9, s9
; %bb.201:                              ;   in Loop: Header=BB4_130 Depth=3
	s_delay_alu instid0(VALU_DEP_1)
	v_bfe_u32 v22, v83, 23, 1
; %bb.202:                              ;   in Loop: Header=BB4_130 Depth=3
	s_or_b32 exec_lo, exec_lo, s9
	v_lshrrev_b32_e32 v83, 21, v83
	s_delay_alu instid0(VALU_DEP_2) | instskip(SKIP_2) | instid1(VALU_DEP_2)
	v_cmp_gt_i32_e32 vcc_lo, 32, v22
	v_min_i32_e32 v160, 31, v22
	v_lshrrev_b32_e32 v97, 24, v97
	v_dual_cndmask_b32 v83, 3, v83 :: v_dual_lshlrev_b32 v160, 2, v160
	s_delay_alu instid0(VALU_DEP_1) | instskip(SKIP_1) | instid1(VALU_DEP_2)
	v_or_b32_e32 v22, v22, v83
	v_and_b32_e32 v161, 3, v83
	v_cmp_ne_u32_e32 vcc_lo, 0, v22
	v_and_b32_e32 v97, 0x80, v97
	s_delay_alu instid0(VALU_DEP_1) | instskip(NEXT) | instid1(VALU_DEP_1)
	v_or3_b32 v83, v160, v97, v161
	v_cndmask_b32_e32 v22, 0, v83, vcc_lo
.LBB4_203:                              ;   in Loop: Header=BB4_130 Depth=3
	s_or_b32 exec_lo, exec_lo, s21
.LBB4_204:                              ;   in Loop: Header=BB4_130 Depth=3
	s_delay_alu instid0(SALU_CYCLE_1) | instskip(SKIP_3) | instid1(SALU_CYCLE_1)
	s_or_b32 exec_lo, exec_lo, s10
	v_lshrrev_b32_e32 v97, 16, v19
	v_lshrrev_b32_e32 v83, 16, v96
                                        ; implicit-def: $vgpr160
	s_and_saveexec_b32 s9, s6
	s_xor_b32 s9, exec_lo, s9
	s_cbranch_execz .LBB4_214
; %bb.205:                              ;   in Loop: Header=BB4_130 Depth=3
	v_and_b32_e32 v161, 0xff, v97
	s_mov_b32 s10, 0
	s_mov_b32 s22, exec_lo
                                        ; implicit-def: $sgpr21
	s_delay_alu instid0(VALU_DEP_1)
	v_cmpx_lt_i16_e64 0x7f, v161
	s_xor_b32 s22, exec_lo, s22
	s_cbranch_execnz .LBB4_402
; %bb.206:                              ;   in Loop: Header=BB4_130 Depth=3
	s_or_saveexec_b32 s22, s22
	v_mov_b32_e32 v160, s21
	s_xor_b32 exec_lo, exec_lo, s22
	s_cbranch_execnz .LBB4_405
.LBB4_207:                              ;   in Loop: Header=BB4_130 Depth=3
	s_or_b32 exec_lo, exec_lo, s22
	s_and_saveexec_b32 s21, s10
	s_cbranch_execz .LBB4_209
.LBB4_208:                              ;   in Loop: Header=BB4_130 Depth=3
	v_bfe_u32 v160, v19, 16, 2
	v_bfe_u32 v163, v19, 18, 5
	s_delay_alu instid0(VALU_DEP_2) | instskip(NEXT) | instid1(VALU_DEP_2)
	v_clz_i32_u32_e32 v161, v160
	v_cmp_eq_u32_e32 vcc_lo, 0, v163
	s_delay_alu instid0(VALU_DEP_2) | instskip(NEXT) | instid1(VALU_DEP_1)
	v_min_u32_e32 v161, 32, v161
	v_subrev_nc_u32_e32 v162, 29, v161
	v_sub_nc_u32_e32 v161, 30, v161
	s_delay_alu instid0(VALU_DEP_2) | instskip(NEXT) | instid1(VALU_DEP_1)
	v_lshlrev_b32_e32 v162, v162, v97
	v_dual_cndmask_b32 v161, v163, v161 :: v_dual_and_b32 v162, 3, v162
	v_lshlrev_b32_e32 v97, 24, v97
	s_delay_alu instid0(VALU_DEP_2) | instskip(NEXT) | instid1(VALU_DEP_2)
	v_lshl_add_u32 v161, v161, 23, 0x37800000
	v_dual_cndmask_b32 v160, v160, v162 :: v_dual_and_b32 v97, 0x80000000, v97
	s_delay_alu instid0(VALU_DEP_1) | instskip(NEXT) | instid1(VALU_DEP_1)
	v_lshlrev_b32_e32 v160, 21, v160
	v_or3_b32 v160, v97, v161, v160
.LBB4_209:                              ;   in Loop: Header=BB4_130 Depth=3
	s_or_b32 exec_lo, exec_lo, s21
	v_and_b32_e32 v161, 0xff, v83
	s_mov_b32 s10, 0
	s_mov_b32 s22, exec_lo
                                        ; implicit-def: $sgpr21
	s_delay_alu instid0(VALU_DEP_1)
	v_cmpx_lt_i16_e64 0x7f, v161
	s_xor_b32 s22, exec_lo, s22
	s_cbranch_execnz .LBB4_406
; %bb.210:                              ;   in Loop: Header=BB4_130 Depth=3
	s_or_saveexec_b32 s22, s22
	v_mov_b32_e32 v97, s21
	s_xor_b32 exec_lo, exec_lo, s22
	s_cbranch_execnz .LBB4_409
.LBB4_211:                              ;   in Loop: Header=BB4_130 Depth=3
	s_or_b32 exec_lo, exec_lo, s22
	s_and_saveexec_b32 s21, s10
	s_cbranch_execz .LBB4_213
.LBB4_212:                              ;   in Loop: Header=BB4_130 Depth=3
	v_bfe_u32 v97, v96, 16, 2
	v_bfe_u32 v163, v96, 18, 5
	s_delay_alu instid0(VALU_DEP_2) | instskip(NEXT) | instid1(VALU_DEP_2)
	v_clz_i32_u32_e32 v161, v97
	v_cmp_eq_u32_e32 vcc_lo, 0, v163
	s_delay_alu instid0(VALU_DEP_2) | instskip(NEXT) | instid1(VALU_DEP_1)
	v_min_u32_e32 v161, 32, v161
	v_subrev_nc_u32_e32 v162, 29, v161
	v_sub_nc_u32_e32 v161, 30, v161
	s_delay_alu instid0(VALU_DEP_1) | instskip(SKIP_1) | instid1(VALU_DEP_2)
	v_dual_cndmask_b32 v161, v163, v161 :: v_dual_lshlrev_b32 v162, v162, v83
	v_lshlrev_b32_e32 v83, 24, v83
	v_and_b32_e32 v162, 3, v162
	s_delay_alu instid0(VALU_DEP_3) | instskip(NEXT) | instid1(VALU_DEP_3)
	v_lshl_add_u32 v161, v161, 23, 0x37800000
	v_and_b32_e32 v83, 0x80000000, v83
	s_delay_alu instid0(VALU_DEP_3) | instskip(NEXT) | instid1(VALU_DEP_1)
	v_cndmask_b32_e32 v97, v97, v162, vcc_lo
	v_lshlrev_b32_e32 v97, 21, v97
	s_delay_alu instid0(VALU_DEP_1)
	v_or3_b32 v97, v83, v161, v97
.LBB4_213:                              ;   in Loop: Header=BB4_130 Depth=3
	s_or_b32 exec_lo, exec_lo, s21
	s_delay_alu instid0(VALU_DEP_1) | instskip(SKIP_1) | instid1(VALU_DEP_1)
	v_max_f32_e32 v83, v97, v97
	v_max_f32_e32 v97, v160, v160
	;; [unrolled: 1-line block ×3, first 2 shown]
                                        ; implicit-def: $vgpr83
                                        ; implicit-def: $vgpr97
.LBB4_214:                              ;   in Loop: Header=BB4_130 Depth=3
	s_and_not1_saveexec_b32 s9, s9
	s_cbranch_execz .LBB4_224
; %bb.215:                              ;   in Loop: Header=BB4_130 Depth=3
	v_and_b32_e32 v161, 0xff, v97
	s_mov_b32 s10, 0
	s_mov_b32 s22, exec_lo
                                        ; implicit-def: $sgpr21
	s_delay_alu instid0(VALU_DEP_1)
	v_cmpx_lt_i16_e64 0x7f, v161
	s_xor_b32 s22, exec_lo, s22
	s_cbranch_execnz .LBB4_410
; %bb.216:                              ;   in Loop: Header=BB4_130 Depth=3
	s_or_saveexec_b32 s22, s22
	v_mov_b32_e32 v160, s21
	s_xor_b32 exec_lo, exec_lo, s22
	s_cbranch_execnz .LBB4_413
.LBB4_217:                              ;   in Loop: Header=BB4_130 Depth=3
	s_or_b32 exec_lo, exec_lo, s22
	s_and_saveexec_b32 s21, s10
	s_cbranch_execz .LBB4_219
.LBB4_218:                              ;   in Loop: Header=BB4_130 Depth=3
	v_bfe_u32 v160, v19, 16, 2
	v_bfe_u32 v163, v19, 18, 5
	s_delay_alu instid0(VALU_DEP_2) | instskip(NEXT) | instid1(VALU_DEP_2)
	v_clz_i32_u32_e32 v161, v160
	v_cmp_eq_u32_e32 vcc_lo, 0, v163
	s_delay_alu instid0(VALU_DEP_2) | instskip(NEXT) | instid1(VALU_DEP_1)
	v_min_u32_e32 v161, 32, v161
	v_subrev_nc_u32_e32 v162, 29, v161
	v_sub_nc_u32_e32 v161, 30, v161
	s_delay_alu instid0(VALU_DEP_2) | instskip(NEXT) | instid1(VALU_DEP_1)
	v_lshlrev_b32_e32 v162, v162, v97
	v_dual_cndmask_b32 v161, v163, v161 :: v_dual_and_b32 v162, 3, v162
	v_lshlrev_b32_e32 v97, 24, v97
	s_delay_alu instid0(VALU_DEP_2) | instskip(NEXT) | instid1(VALU_DEP_2)
	v_lshl_add_u32 v161, v161, 23, 0x37800000
	v_dual_cndmask_b32 v160, v160, v162 :: v_dual_and_b32 v97, 0x80000000, v97
	s_delay_alu instid0(VALU_DEP_1) | instskip(NEXT) | instid1(VALU_DEP_1)
	v_lshlrev_b32_e32 v160, 21, v160
	v_or3_b32 v160, v97, v161, v160
.LBB4_219:                              ;   in Loop: Header=BB4_130 Depth=3
	s_or_b32 exec_lo, exec_lo, s21
	v_and_b32_e32 v161, 0xff, v83
	s_mov_b32 s10, 0
	s_mov_b32 s22, exec_lo
                                        ; implicit-def: $sgpr21
	s_delay_alu instid0(VALU_DEP_1)
	v_cmpx_lt_i16_e64 0x7f, v161
	s_xor_b32 s22, exec_lo, s22
	s_cbranch_execnz .LBB4_414
; %bb.220:                              ;   in Loop: Header=BB4_130 Depth=3
	s_or_saveexec_b32 s22, s22
	v_mov_b32_e32 v97, s21
	s_xor_b32 exec_lo, exec_lo, s22
	s_cbranch_execnz .LBB4_417
.LBB4_221:                              ;   in Loop: Header=BB4_130 Depth=3
	s_or_b32 exec_lo, exec_lo, s22
	s_and_saveexec_b32 s21, s10
	s_cbranch_execz .LBB4_223
.LBB4_222:                              ;   in Loop: Header=BB4_130 Depth=3
	v_bfe_u32 v97, v96, 16, 2
	v_bfe_u32 v163, v96, 18, 5
	s_delay_alu instid0(VALU_DEP_2) | instskip(NEXT) | instid1(VALU_DEP_2)
	v_clz_i32_u32_e32 v161, v97
	v_cmp_eq_u32_e32 vcc_lo, 0, v163
	s_delay_alu instid0(VALU_DEP_2) | instskip(NEXT) | instid1(VALU_DEP_1)
	v_min_u32_e32 v161, 32, v161
	v_subrev_nc_u32_e32 v162, 29, v161
	v_sub_nc_u32_e32 v161, 30, v161
	s_delay_alu instid0(VALU_DEP_1) | instskip(SKIP_1) | instid1(VALU_DEP_2)
	v_dual_cndmask_b32 v161, v163, v161 :: v_dual_lshlrev_b32 v162, v162, v83
	v_lshlrev_b32_e32 v83, 24, v83
	v_and_b32_e32 v162, 3, v162
	s_delay_alu instid0(VALU_DEP_3) | instskip(NEXT) | instid1(VALU_DEP_3)
	v_lshl_add_u32 v161, v161, 23, 0x37800000
	v_and_b32_e32 v83, 0x80000000, v83
	s_delay_alu instid0(VALU_DEP_3) | instskip(NEXT) | instid1(VALU_DEP_1)
	v_cndmask_b32_e32 v97, v97, v162, vcc_lo
	v_lshlrev_b32_e32 v97, 21, v97
	s_delay_alu instid0(VALU_DEP_1)
	v_or3_b32 v97, v83, v161, v97
.LBB4_223:                              ;   in Loop: Header=BB4_130 Depth=3
	s_or_b32 exec_lo, exec_lo, s21
	s_delay_alu instid0(VALU_DEP_1) | instskip(SKIP_1) | instid1(VALU_DEP_1)
	v_max_f32_e32 v83, v97, v97
	v_max_f32_e32 v97, v160, v160
	v_min_f32_e32 v160, v97, v83
.LBB4_224:                              ;   in Loop: Header=BB4_130 Depth=3
	s_or_b32 exec_lo, exec_lo, s9
	s_delay_alu instid0(VALU_DEP_1) | instskip(NEXT) | instid1(VALU_DEP_1)
	v_and_b32_e32 v83, 0x7f800000, v160
	v_cmp_ne_u32_e32 vcc_lo, 0x7f800000, v83
	v_mov_b32_e32 v83, 0x80
	s_and_saveexec_b32 s10, vcc_lo
	s_cbranch_execz .LBB4_232
; %bb.225:                              ;   in Loop: Header=BB4_130 Depth=3
	v_mov_b32_e32 v83, 0
	s_mov_b32 s21, exec_lo
	v_cmpx_ne_u32_e32 0, v160
	s_cbranch_execz .LBB4_231
; %bb.226:                              ;   in Loop: Header=BB4_130 Depth=3
	v_bfe_u32 v83, v160, 23, 8
	v_and_b32_e32 v97, 0x7fffff, v160
	s_delay_alu instid0(VALU_DEP_2) | instskip(SKIP_1) | instid1(VALU_DEP_3)
	v_sub_nc_u32_e32 v161, 0x70, v83
	v_cmp_gt_u32_e32 vcc_lo, 0x71, v83
	v_or_b32_e32 v162, 0x800000, v97
	s_delay_alu instid0(VALU_DEP_3) | instskip(SKIP_2) | instid1(VALU_DEP_3)
	v_cndmask_b32_e32 v161, 0, v161, vcc_lo
	v_cmp_eq_u32_e32 vcc_lo, 0, v83
	v_add_nc_u32_e32 v83, 0xffffff91, v83
	v_cndmask_b32_e64 v161, v161, 0x6f, vcc_lo
	v_cndmask_b32_e32 v97, v162, v97, vcc_lo
	s_delay_alu instid0(VALU_DEP_3) | instskip(NEXT) | instid1(VALU_DEP_3)
	v_cndmask_b32_e64 v83, v83, 0xffffff92, vcc_lo
	v_lshl_add_u32 v162, 0x200000, v161, -1
	s_delay_alu instid0(VALU_DEP_3) | instskip(SKIP_1) | instid1(VALU_DEP_4)
	v_lshrrev_b32_e32 v163, v161, v97
	v_lshlrev_b32_e64 v165, v161, 0x100000
	v_add_nc_u32_e32 v161, v161, v83
	s_delay_alu instid0(VALU_DEP_4) | instskip(NEXT) | instid1(VALU_DEP_4)
	v_and_b32_e32 v97, v162, v97
	v_bfe_u32 v164, v163, 21, 1
	s_delay_alu instid0(VALU_DEP_2) | instskip(NEXT) | instid1(VALU_DEP_2)
	v_cmp_eq_u32_e64 s9, v97, v165
	v_add_nc_u32_e32 v162, -1, v164
	s_delay_alu instid0(VALU_DEP_1) | instskip(SKIP_2) | instid1(VALU_DEP_2)
	v_cndmask_b32_e64 v97, 0, v162, s9
	v_lshrrev_b32_e32 v162, 23, v163
	s_mov_b32 s9, exec_lo
	v_add_nc_u32_e32 v97, v97, v163
	s_delay_alu instid0(VALU_DEP_2) | instskip(NEXT) | instid1(VALU_DEP_2)
	v_xor_b32_e32 v162, 1, v162
	v_and_b32_e32 v83, 0x1fffff, v97
	s_delay_alu instid0(VALU_DEP_1) | instskip(NEXT) | instid1(VALU_DEP_3)
	v_add_nc_u32_e32 v97, v83, v163
                                        ; implicit-def: $vgpr83
	v_cmpx_ne_u32_e64 v161, v162
	s_xor_b32 s9, exec_lo, s9
; %bb.227:                              ;   in Loop: Header=BB4_130 Depth=3
	s_delay_alu instid0(VALU_DEP_2) | instskip(SKIP_2) | instid1(VALU_DEP_2)
	v_cmp_lt_u32_e32 vcc_lo, 0xffffff, v97
	v_sub_nc_u32_e32 v83, v161, v162
	v_cndmask_b32_e64 v161, 0, 1, vcc_lo
	v_add_co_ci_u32_e32 v83, vcc_lo, 0, v83, vcc_lo
	s_delay_alu instid0(VALU_DEP_2)
	v_lshrrev_b32_e32 v97, v161, v97
; %bb.228:                              ;   in Loop: Header=BB4_130 Depth=3
	s_and_not1_saveexec_b32 s9, s9
; %bb.229:                              ;   in Loop: Header=BB4_130 Depth=3
	s_delay_alu instid0(VALU_DEP_1)
	v_bfe_u32 v83, v97, 23, 1
; %bb.230:                              ;   in Loop: Header=BB4_130 Depth=3
	s_or_b32 exec_lo, exec_lo, s9
	v_lshrrev_b32_e32 v97, 21, v97
	s_delay_alu instid0(VALU_DEP_2) | instskip(SKIP_2) | instid1(VALU_DEP_2)
	v_cmp_gt_i32_e32 vcc_lo, 32, v83
	v_lshrrev_b32_e32 v160, 24, v160
	v_min_i32_e32 v161, 31, v83
	v_dual_cndmask_b32 v97, 3, v97 :: v_dual_and_b32 v160, 0x80, v160
	s_delay_alu instid0(VALU_DEP_2) | instskip(NEXT) | instid1(VALU_DEP_2)
	v_lshlrev_b32_e32 v161, 2, v161
	v_and_b32_e32 v162, 3, v97
	v_or_b32_e32 v83, v83, v97
	s_delay_alu instid0(VALU_DEP_2) | instskip(NEXT) | instid1(VALU_DEP_2)
	v_or3_b32 v97, v161, v160, v162
	v_cmp_ne_u32_e32 vcc_lo, 0, v83
	s_delay_alu instid0(VALU_DEP_2)
	v_cndmask_b32_e32 v83, 0, v97, vcc_lo
.LBB4_231:                              ;   in Loop: Header=BB4_130 Depth=3
	s_or_b32 exec_lo, exec_lo, s21
.LBB4_232:                              ;   in Loop: Header=BB4_130 Depth=3
	s_delay_alu instid0(SALU_CYCLE_1) | instskip(SKIP_3) | instid1(SALU_CYCLE_1)
	s_or_b32 exec_lo, exec_lo, s10
	v_lshrrev_b32_e32 v160, 24, v19
	v_lshrrev_b32_e32 v97, 24, v96
                                        ; implicit-def: $vgpr161
	s_and_saveexec_b32 s9, s6
	s_xor_b32 s9, exec_lo, s9
	s_cbranch_execz .LBB4_242
; %bb.233:                              ;   in Loop: Header=BB4_130 Depth=3
	s_mov_b32 s10, 0
	s_mov_b32 s22, exec_lo
                                        ; implicit-def: $sgpr21
	v_cmpx_lt_i16_e64 0x7f, v160
	s_xor_b32 s22, exec_lo, s22
	s_cbranch_execnz .LBB4_418
; %bb.234:                              ;   in Loop: Header=BB4_130 Depth=3
	s_or_saveexec_b32 s22, s22
	v_mov_b32_e32 v161, s21
	s_xor_b32 exec_lo, exec_lo, s22
	s_cbranch_execnz .LBB4_421
.LBB4_235:                              ;   in Loop: Header=BB4_130 Depth=3
	s_or_b32 exec_lo, exec_lo, s22
	s_and_saveexec_b32 s21, s10
	s_cbranch_execz .LBB4_237
.LBB4_236:                              ;   in Loop: Header=BB4_130 Depth=3
	v_bfe_u32 v161, v19, 24, 2
	s_delay_alu instid0(VALU_DEP_1) | instskip(NEXT) | instid1(VALU_DEP_1)
	v_clz_i32_u32_e32 v162, v161
	v_min_u32_e32 v162, 32, v162
	s_delay_alu instid0(VALU_DEP_1) | instskip(SKIP_1) | instid1(VALU_DEP_2)
	v_subrev_nc_u32_e32 v163, 29, v162
	v_sub_nc_u32_e32 v162, 30, v162
	v_lshlrev_b32_e32 v160, v163, v160
	v_bfe_u32 v163, v19, 26, 5
	v_and_b32_e32 v19, 0x80000000, v19
	s_delay_alu instid0(VALU_DEP_3) | instskip(NEXT) | instid1(VALU_DEP_3)
	v_and_b32_e32 v160, 3, v160
	v_cmp_eq_u32_e32 vcc_lo, 0, v163
	v_cndmask_b32_e32 v162, v163, v162, vcc_lo
	s_delay_alu instid0(VALU_DEP_3) | instskip(NEXT) | instid1(VALU_DEP_2)
	v_cndmask_b32_e32 v160, v161, v160, vcc_lo
	v_lshl_add_u32 v161, v162, 23, 0x37800000
	s_delay_alu instid0(VALU_DEP_2) | instskip(NEXT) | instid1(VALU_DEP_1)
	v_lshlrev_b32_e32 v160, 21, v160
	v_or3_b32 v161, v19, v161, v160
.LBB4_237:                              ;   in Loop: Header=BB4_130 Depth=3
	s_or_b32 exec_lo, exec_lo, s21
	s_mov_b32 s10, 0
	s_mov_b32 s22, exec_lo
                                        ; implicit-def: $sgpr21
	v_cmpx_lt_i16_e32 0x7f, v97
	s_xor_b32 s22, exec_lo, s22
	s_cbranch_execnz .LBB4_422
; %bb.238:                              ;   in Loop: Header=BB4_130 Depth=3
	s_or_saveexec_b32 s22, s22
	v_mov_b32_e32 v19, s21
	s_xor_b32 exec_lo, exec_lo, s22
	s_cbranch_execnz .LBB4_425
.LBB4_239:                              ;   in Loop: Header=BB4_130 Depth=3
	s_or_b32 exec_lo, exec_lo, s22
	s_and_saveexec_b32 s21, s10
	s_cbranch_execz .LBB4_241
.LBB4_240:                              ;   in Loop: Header=BB4_130 Depth=3
	v_bfe_u32 v19, v96, 24, 2
	s_delay_alu instid0(VALU_DEP_1) | instskip(NEXT) | instid1(VALU_DEP_1)
	v_clz_i32_u32_e32 v160, v19
	v_min_u32_e32 v160, 32, v160
	s_delay_alu instid0(VALU_DEP_1) | instskip(SKIP_1) | instid1(VALU_DEP_2)
	v_subrev_nc_u32_e32 v162, 29, v160
	v_sub_nc_u32_e32 v160, 30, v160
	v_lshlrev_b32_e32 v97, v162, v97
	v_bfe_u32 v162, v96, 26, 5
	v_and_b32_e32 v96, 0x80000000, v96
	s_delay_alu instid0(VALU_DEP_2) | instskip(NEXT) | instid1(VALU_DEP_4)
	v_cmp_eq_u32_e32 vcc_lo, 0, v162
	v_dual_cndmask_b32 v160, v162, v160 :: v_dual_and_b32 v97, 3, v97
	s_delay_alu instid0(VALU_DEP_1) | instskip(NEXT) | instid1(VALU_DEP_2)
	v_cndmask_b32_e32 v19, v19, v97, vcc_lo
	v_lshl_add_u32 v97, v160, 23, 0x37800000
	s_delay_alu instid0(VALU_DEP_2) | instskip(NEXT) | instid1(VALU_DEP_1)
	v_lshlrev_b32_e32 v19, 21, v19
	v_or3_b32 v19, v96, v97, v19
.LBB4_241:                              ;   in Loop: Header=BB4_130 Depth=3
	s_or_b32 exec_lo, exec_lo, s21
	s_delay_alu instid0(VALU_DEP_1) | instskip(NEXT) | instid1(VALU_DEP_1)
	v_dual_max_f32 v19, v19, v19 :: v_dual_max_f32 v96, v161, v161
                                        ; implicit-def: $vgpr97
                                        ; implicit-def: $vgpr160
	v_max_f32_e32 v161, v96, v19
                                        ; implicit-def: $vgpr96
.LBB4_242:                              ;   in Loop: Header=BB4_130 Depth=3
	s_and_not1_saveexec_b32 s9, s9
	s_cbranch_execz .LBB4_252
; %bb.243:                              ;   in Loop: Header=BB4_130 Depth=3
	s_mov_b32 s10, 0
	s_mov_b32 s22, exec_lo
                                        ; implicit-def: $sgpr21
	v_cmpx_lt_i16_e64 0x7f, v160
	s_xor_b32 s22, exec_lo, s22
	s_cbranch_execnz .LBB4_426
; %bb.244:                              ;   in Loop: Header=BB4_130 Depth=3
	s_or_saveexec_b32 s22, s22
	v_mov_b32_e32 v161, s21
	s_xor_b32 exec_lo, exec_lo, s22
	s_cbranch_execnz .LBB4_429
.LBB4_245:                              ;   in Loop: Header=BB4_130 Depth=3
	s_or_b32 exec_lo, exec_lo, s22
	s_and_saveexec_b32 s21, s10
	s_cbranch_execz .LBB4_247
.LBB4_246:                              ;   in Loop: Header=BB4_130 Depth=3
	v_bfe_u32 v161, v19, 24, 2
	s_delay_alu instid0(VALU_DEP_1) | instskip(NEXT) | instid1(VALU_DEP_1)
	v_clz_i32_u32_e32 v162, v161
	v_min_u32_e32 v162, 32, v162
	s_delay_alu instid0(VALU_DEP_1) | instskip(SKIP_1) | instid1(VALU_DEP_2)
	v_subrev_nc_u32_e32 v163, 29, v162
	v_sub_nc_u32_e32 v162, 30, v162
	v_lshlrev_b32_e32 v160, v163, v160
	v_bfe_u32 v163, v19, 26, 5
	v_and_b32_e32 v19, 0x80000000, v19
	s_delay_alu instid0(VALU_DEP_3) | instskip(NEXT) | instid1(VALU_DEP_3)
	v_and_b32_e32 v160, 3, v160
	v_cmp_eq_u32_e32 vcc_lo, 0, v163
	v_cndmask_b32_e32 v162, v163, v162, vcc_lo
	s_delay_alu instid0(VALU_DEP_3) | instskip(NEXT) | instid1(VALU_DEP_2)
	v_cndmask_b32_e32 v160, v161, v160, vcc_lo
	v_lshl_add_u32 v161, v162, 23, 0x37800000
	s_delay_alu instid0(VALU_DEP_2) | instskip(NEXT) | instid1(VALU_DEP_1)
	v_lshlrev_b32_e32 v160, 21, v160
	v_or3_b32 v161, v19, v161, v160
.LBB4_247:                              ;   in Loop: Header=BB4_130 Depth=3
	s_or_b32 exec_lo, exec_lo, s21
	s_mov_b32 s10, 0
	s_mov_b32 s22, exec_lo
                                        ; implicit-def: $sgpr21
	v_cmpx_lt_i16_e32 0x7f, v97
	s_xor_b32 s22, exec_lo, s22
	s_cbranch_execnz .LBB4_430
; %bb.248:                              ;   in Loop: Header=BB4_130 Depth=3
	s_or_saveexec_b32 s22, s22
	v_mov_b32_e32 v19, s21
	s_xor_b32 exec_lo, exec_lo, s22
	s_cbranch_execnz .LBB4_433
.LBB4_249:                              ;   in Loop: Header=BB4_130 Depth=3
	s_or_b32 exec_lo, exec_lo, s22
	s_and_saveexec_b32 s21, s10
	s_cbranch_execz .LBB4_251
.LBB4_250:                              ;   in Loop: Header=BB4_130 Depth=3
	v_bfe_u32 v19, v96, 24, 2
	s_delay_alu instid0(VALU_DEP_1) | instskip(NEXT) | instid1(VALU_DEP_1)
	v_clz_i32_u32_e32 v160, v19
	v_min_u32_e32 v160, 32, v160
	s_delay_alu instid0(VALU_DEP_1) | instskip(SKIP_1) | instid1(VALU_DEP_2)
	v_subrev_nc_u32_e32 v162, 29, v160
	v_sub_nc_u32_e32 v160, 30, v160
	v_lshlrev_b32_e32 v97, v162, v97
	v_bfe_u32 v162, v96, 26, 5
	v_and_b32_e32 v96, 0x80000000, v96
	s_delay_alu instid0(VALU_DEP_2) | instskip(NEXT) | instid1(VALU_DEP_4)
	v_cmp_eq_u32_e32 vcc_lo, 0, v162
	v_dual_cndmask_b32 v160, v162, v160 :: v_dual_and_b32 v97, 3, v97
	s_delay_alu instid0(VALU_DEP_1) | instskip(NEXT) | instid1(VALU_DEP_2)
	v_cndmask_b32_e32 v19, v19, v97, vcc_lo
	v_lshl_add_u32 v97, v160, 23, 0x37800000
	s_delay_alu instid0(VALU_DEP_2) | instskip(NEXT) | instid1(VALU_DEP_1)
	v_lshlrev_b32_e32 v19, 21, v19
	v_or3_b32 v19, v96, v97, v19
.LBB4_251:                              ;   in Loop: Header=BB4_130 Depth=3
	s_or_b32 exec_lo, exec_lo, s21
	s_delay_alu instid0(VALU_DEP_1) | instskip(NEXT) | instid1(VALU_DEP_1)
	v_dual_max_f32 v19, v19, v19 :: v_dual_max_f32 v96, v161, v161
	v_min_f32_e32 v161, v96, v19
.LBB4_252:                              ;   in Loop: Header=BB4_130 Depth=3
	s_or_b32 exec_lo, exec_lo, s9
	s_delay_alu instid0(VALU_DEP_1) | instskip(SKIP_2) | instid1(VALU_DEP_2)
	v_and_b32_e32 v19, 0x7f800000, v161
	v_mov_b32_e32 v96, 0x80
	s_mov_b32 s10, exec_lo
	v_cmpx_ne_u32_e32 0x7f800000, v19
	s_cbranch_execz .LBB4_260
; %bb.253:                              ;   in Loop: Header=BB4_130 Depth=3
	v_mov_b32_e32 v96, 0
	s_mov_b32 s21, exec_lo
	v_cmpx_ne_u32_e32 0, v161
	s_cbranch_execz .LBB4_259
; %bb.254:                              ;   in Loop: Header=BB4_130 Depth=3
	v_bfe_u32 v19, v161, 23, 8
	v_and_b32_e32 v96, 0x7fffff, v161
	s_delay_alu instid0(VALU_DEP_2) | instskip(SKIP_1) | instid1(VALU_DEP_3)
	v_sub_nc_u32_e32 v97, 0x70, v19
	v_cmp_gt_u32_e32 vcc_lo, 0x71, v19
	v_or_b32_e32 v160, 0x800000, v96
	s_delay_alu instid0(VALU_DEP_3) | instskip(SKIP_1) | instid1(VALU_DEP_3)
	v_cndmask_b32_e32 v97, 0, v97, vcc_lo
	v_cmp_eq_u32_e32 vcc_lo, 0, v19
	v_dual_cndmask_b32 v96, v160, v96 :: v_dual_add_nc_u32 v19, 0xffffff91, v19
	s_delay_alu instid0(VALU_DEP_3) | instskip(NEXT) | instid1(VALU_DEP_2)
	v_cndmask_b32_e64 v97, v97, 0x6f, vcc_lo
	v_cndmask_b32_e64 v19, v19, 0xffffff92, vcc_lo
	s_delay_alu instid0(VALU_DEP_2) | instskip(SKIP_2) | instid1(VALU_DEP_4)
	v_lshrrev_b32_e32 v162, v97, v96
	v_lshl_add_u32 v160, 0x200000, v97, -1
	v_lshlrev_b32_e64 v164, v97, 0x100000
	v_add_nc_u32_e32 v97, v97, v19
	s_delay_alu instid0(VALU_DEP_4) | instskip(NEXT) | instid1(VALU_DEP_4)
	v_bfe_u32 v163, v162, 21, 1
	v_and_b32_e32 v96, v160, v96
	s_delay_alu instid0(VALU_DEP_2) | instskip(NEXT) | instid1(VALU_DEP_2)
	v_add_nc_u32_e32 v160, -1, v163
	v_cmp_eq_u32_e64 s9, v96, v164
	s_delay_alu instid0(VALU_DEP_1) | instskip(SKIP_2) | instid1(VALU_DEP_2)
	v_cndmask_b32_e64 v96, 0, v160, s9
	v_lshrrev_b32_e32 v160, 23, v162
	s_mov_b32 s9, exec_lo
	v_add_nc_u32_e32 v96, v96, v162
	s_delay_alu instid0(VALU_DEP_2) | instskip(NEXT) | instid1(VALU_DEP_2)
	v_xor_b32_e32 v160, 1, v160
	v_and_b32_e32 v19, 0x1fffff, v96
	s_delay_alu instid0(VALU_DEP_1) | instskip(NEXT) | instid1(VALU_DEP_3)
	v_add_nc_u32_e32 v96, v19, v162
                                        ; implicit-def: $vgpr19
	v_cmpx_ne_u32_e64 v97, v160
	s_xor_b32 s9, exec_lo, s9
; %bb.255:                              ;   in Loop: Header=BB4_130 Depth=3
	s_delay_alu instid0(VALU_DEP_2) | instskip(SKIP_2) | instid1(VALU_DEP_2)
	v_cmp_lt_u32_e32 vcc_lo, 0xffffff, v96
	v_sub_nc_u32_e32 v19, v97, v160
	v_cndmask_b32_e64 v97, 0, 1, vcc_lo
	v_add_co_ci_u32_e32 v19, vcc_lo, 0, v19, vcc_lo
	s_delay_alu instid0(VALU_DEP_2)
	v_lshrrev_b32_e32 v96, v97, v96
; %bb.256:                              ;   in Loop: Header=BB4_130 Depth=3
	s_and_not1_saveexec_b32 s9, s9
; %bb.257:                              ;   in Loop: Header=BB4_130 Depth=3
	s_delay_alu instid0(VALU_DEP_1)
	v_bfe_u32 v19, v96, 23, 1
; %bb.258:                              ;   in Loop: Header=BB4_130 Depth=3
	s_or_b32 exec_lo, exec_lo, s9
	v_lshrrev_b32_e32 v96, 21, v96
	s_delay_alu instid0(VALU_DEP_2) | instskip(SKIP_2) | instid1(VALU_DEP_2)
	v_cmp_gt_i32_e32 vcc_lo, 32, v19
	v_lshrrev_b32_e32 v97, 24, v161
	v_min_i32_e32 v160, 31, v19
	v_dual_cndmask_b32 v96, 3, v96 :: v_dual_and_b32 v97, 0x80, v97
	s_delay_alu instid0(VALU_DEP_2) | instskip(NEXT) | instid1(VALU_DEP_2)
	v_lshlrev_b32_e32 v160, 2, v160
	v_and_b32_e32 v161, 3, v96
	v_or_b32_e32 v19, v19, v96
	s_delay_alu instid0(VALU_DEP_2) | instskip(NEXT) | instid1(VALU_DEP_2)
	v_or3_b32 v96, v160, v97, v161
	v_cmp_ne_u32_e32 vcc_lo, 0, v19
	s_delay_alu instid0(VALU_DEP_2)
	v_cndmask_b32_e32 v96, 0, v96, vcc_lo
.LBB4_259:                              ;   in Loop: Header=BB4_130 Depth=3
	s_or_b32 exec_lo, exec_lo, s21
.LBB4_260:                              ;   in Loop: Header=BB4_130 Depth=3
	s_delay_alu instid0(SALU_CYCLE_1) | instskip(SKIP_2) | instid1(SALU_CYCLE_1)
	s_or_b32 exec_lo, exec_lo, s10
	v_alignbit_b32 v97, v150, v151, v20
                                        ; implicit-def: $vgpr20
	s_and_saveexec_b32 s9, s6
	s_xor_b32 s9, exec_lo, s9
	s_cbranch_execz .LBB4_270
; %bb.261:                              ;   in Loop: Header=BB4_130 Depth=3
	v_and_b32_e32 v20, 0xff, v21
	s_mov_b32 s10, 0
	s_mov_b32 s22, exec_lo
                                        ; implicit-def: $sgpr21
	s_delay_alu instid0(VALU_DEP_1)
	v_cmpx_lt_i16_e32 0x7f, v20
	s_xor_b32 s22, exec_lo, s22
	s_cbranch_execnz .LBB4_434
; %bb.262:                              ;   in Loop: Header=BB4_130 Depth=3
	s_or_saveexec_b32 s22, s22
	v_mov_b32_e32 v19, s21
	s_xor_b32 exec_lo, exec_lo, s22
	s_cbranch_execnz .LBB4_437
.LBB4_263:                              ;   in Loop: Header=BB4_130 Depth=3
	s_or_b32 exec_lo, exec_lo, s22
	s_and_saveexec_b32 s21, s10
	s_cbranch_execz .LBB4_265
.LBB4_264:                              ;   in Loop: Header=BB4_130 Depth=3
	v_bfe_u32 v151, v21, 2, 5
	s_delay_alu instid0(VALU_DEP_1) | instskip(SKIP_1) | instid1(VALU_DEP_1)
	v_cmp_eq_u32_e32 vcc_lo, 0, v151
	v_and_b32_e32 v19, 3, v21
	v_clz_i32_u32_e32 v20, v19
	s_delay_alu instid0(VALU_DEP_1) | instskip(NEXT) | instid1(VALU_DEP_1)
	v_min_u32_e32 v20, 32, v20
	v_subrev_nc_u32_e32 v150, 29, v20
	v_sub_nc_u32_e32 v20, 30, v20
	s_delay_alu instid0(VALU_DEP_2) | instskip(NEXT) | instid1(VALU_DEP_2)
	v_lshlrev_b32_e32 v150, v150, v21
	v_cndmask_b32_e32 v20, v151, v20, vcc_lo
	s_delay_alu instid0(VALU_DEP_2) | instskip(SKIP_1) | instid1(VALU_DEP_3)
	v_and_b32_e32 v150, 3, v150
	v_lshlrev_b32_e32 v160, 24, v21
	v_lshl_add_u32 v20, v20, 23, 0x37800000
	s_delay_alu instid0(VALU_DEP_2) | instskip(NEXT) | instid1(VALU_DEP_1)
	v_dual_cndmask_b32 v19, v19, v150 :: v_dual_and_b32 v150, 0x80000000, v160
	v_lshlrev_b32_e32 v19, 21, v19
	s_delay_alu instid0(VALU_DEP_1)
	v_or3_b32 v19, v150, v20, v19
.LBB4_265:                              ;   in Loop: Header=BB4_130 Depth=3
	s_or_b32 exec_lo, exec_lo, s21
	v_and_b32_e32 v150, 0xff, v97
	s_mov_b32 s10, 0
	s_mov_b32 s22, exec_lo
                                        ; implicit-def: $sgpr21
	s_delay_alu instid0(VALU_DEP_1)
	v_cmpx_lt_i16_e64 0x7f, v150
	s_xor_b32 s22, exec_lo, s22
	s_cbranch_execnz .LBB4_438
; %bb.266:                              ;   in Loop: Header=BB4_130 Depth=3
	s_or_saveexec_b32 s22, s22
	v_mov_b32_e32 v20, s21
	s_xor_b32 exec_lo, exec_lo, s22
	s_cbranch_execnz .LBB4_441
.LBB4_267:                              ;   in Loop: Header=BB4_130 Depth=3
	s_or_b32 exec_lo, exec_lo, s22
	s_and_saveexec_b32 s21, s10
	s_cbranch_execz .LBB4_269
.LBB4_268:                              ;   in Loop: Header=BB4_130 Depth=3
	v_and_b32_e32 v20, 3, v97
	v_bfe_u32 v160, v97, 2, 5
	s_delay_alu instid0(VALU_DEP_2) | instskip(NEXT) | instid1(VALU_DEP_2)
	v_clz_i32_u32_e32 v150, v20
	v_cmp_eq_u32_e32 vcc_lo, 0, v160
	s_delay_alu instid0(VALU_DEP_2) | instskip(NEXT) | instid1(VALU_DEP_1)
	v_min_u32_e32 v150, 32, v150
	v_subrev_nc_u32_e32 v151, 29, v150
	v_sub_nc_u32_e32 v150, 30, v150
	s_delay_alu instid0(VALU_DEP_1) | instskip(NEXT) | instid1(VALU_DEP_1)
	v_dual_cndmask_b32 v150, v160, v150 :: v_dual_lshlrev_b32 v151, v151, v97
	v_and_b32_e32 v151, 3, v151
	v_lshlrev_b32_e32 v161, 24, v97
	s_delay_alu instid0(VALU_DEP_3) | instskip(NEXT) | instid1(VALU_DEP_2)
	v_lshl_add_u32 v150, v150, 23, 0x37800000
	v_dual_cndmask_b32 v20, v20, v151 :: v_dual_and_b32 v151, 0x80000000, v161
	s_delay_alu instid0(VALU_DEP_1) | instskip(NEXT) | instid1(VALU_DEP_1)
	v_lshlrev_b32_e32 v20, 21, v20
	v_or3_b32 v20, v151, v150, v20
.LBB4_269:                              ;   in Loop: Header=BB4_130 Depth=3
	s_or_b32 exec_lo, exec_lo, s21
	s_delay_alu instid0(VALU_DEP_1) | instskip(NEXT) | instid1(VALU_DEP_1)
	v_dual_max_f32 v20, v20, v20 :: v_dual_max_f32 v19, v19, v19
	v_max_f32_e32 v20, v19, v20
.LBB4_270:                              ;   in Loop: Header=BB4_130 Depth=3
	s_and_not1_saveexec_b32 s9, s9
	s_cbranch_execz .LBB4_280
; %bb.271:                              ;   in Loop: Header=BB4_130 Depth=3
	v_and_b32_e32 v20, 0xff, v21
	s_mov_b32 s10, 0
	s_mov_b32 s22, exec_lo
                                        ; implicit-def: $sgpr21
	s_delay_alu instid0(VALU_DEP_1)
	v_cmpx_lt_i16_e32 0x7f, v20
	s_xor_b32 s22, exec_lo, s22
	s_cbranch_execnz .LBB4_442
; %bb.272:                              ;   in Loop: Header=BB4_130 Depth=3
	s_or_saveexec_b32 s22, s22
	v_mov_b32_e32 v19, s21
	s_xor_b32 exec_lo, exec_lo, s22
	s_cbranch_execnz .LBB4_445
.LBB4_273:                              ;   in Loop: Header=BB4_130 Depth=3
	s_or_b32 exec_lo, exec_lo, s22
	s_and_saveexec_b32 s21, s10
	s_cbranch_execz .LBB4_275
.LBB4_274:                              ;   in Loop: Header=BB4_130 Depth=3
	v_bfe_u32 v151, v21, 2, 5
	s_delay_alu instid0(VALU_DEP_1) | instskip(SKIP_1) | instid1(VALU_DEP_1)
	v_cmp_eq_u32_e32 vcc_lo, 0, v151
	v_and_b32_e32 v19, 3, v21
	v_clz_i32_u32_e32 v20, v19
	s_delay_alu instid0(VALU_DEP_1) | instskip(NEXT) | instid1(VALU_DEP_1)
	v_min_u32_e32 v20, 32, v20
	v_subrev_nc_u32_e32 v150, 29, v20
	v_sub_nc_u32_e32 v20, 30, v20
	s_delay_alu instid0(VALU_DEP_2) | instskip(NEXT) | instid1(VALU_DEP_2)
	v_lshlrev_b32_e32 v150, v150, v21
	v_cndmask_b32_e32 v20, v151, v20, vcc_lo
	s_delay_alu instid0(VALU_DEP_2) | instskip(SKIP_1) | instid1(VALU_DEP_3)
	v_and_b32_e32 v150, 3, v150
	v_lshlrev_b32_e32 v160, 24, v21
	v_lshl_add_u32 v20, v20, 23, 0x37800000
	s_delay_alu instid0(VALU_DEP_2) | instskip(NEXT) | instid1(VALU_DEP_1)
	v_dual_cndmask_b32 v19, v19, v150 :: v_dual_and_b32 v150, 0x80000000, v160
	v_lshlrev_b32_e32 v19, 21, v19
	s_delay_alu instid0(VALU_DEP_1)
	v_or3_b32 v19, v150, v20, v19
.LBB4_275:                              ;   in Loop: Header=BB4_130 Depth=3
	s_or_b32 exec_lo, exec_lo, s21
	v_and_b32_e32 v150, 0xff, v97
	s_mov_b32 s10, 0
	s_mov_b32 s22, exec_lo
                                        ; implicit-def: $sgpr21
	s_delay_alu instid0(VALU_DEP_1)
	v_cmpx_lt_i16_e64 0x7f, v150
	s_xor_b32 s22, exec_lo, s22
	s_cbranch_execnz .LBB4_446
; %bb.276:                              ;   in Loop: Header=BB4_130 Depth=3
	s_or_saveexec_b32 s22, s22
	v_mov_b32_e32 v20, s21
	s_xor_b32 exec_lo, exec_lo, s22
	s_cbranch_execnz .LBB4_449
.LBB4_277:                              ;   in Loop: Header=BB4_130 Depth=3
	s_or_b32 exec_lo, exec_lo, s22
	s_and_saveexec_b32 s21, s10
	s_cbranch_execz .LBB4_279
.LBB4_278:                              ;   in Loop: Header=BB4_130 Depth=3
	v_and_b32_e32 v20, 3, v97
	v_bfe_u32 v160, v97, 2, 5
	s_delay_alu instid0(VALU_DEP_2) | instskip(NEXT) | instid1(VALU_DEP_2)
	v_clz_i32_u32_e32 v150, v20
	v_cmp_eq_u32_e32 vcc_lo, 0, v160
	s_delay_alu instid0(VALU_DEP_2) | instskip(NEXT) | instid1(VALU_DEP_1)
	v_min_u32_e32 v150, 32, v150
	v_subrev_nc_u32_e32 v151, 29, v150
	v_sub_nc_u32_e32 v150, 30, v150
	s_delay_alu instid0(VALU_DEP_1) | instskip(NEXT) | instid1(VALU_DEP_1)
	v_dual_cndmask_b32 v150, v160, v150 :: v_dual_lshlrev_b32 v151, v151, v97
	v_and_b32_e32 v151, 3, v151
	v_lshlrev_b32_e32 v161, 24, v97
	s_delay_alu instid0(VALU_DEP_3) | instskip(NEXT) | instid1(VALU_DEP_2)
	v_lshl_add_u32 v150, v150, 23, 0x37800000
	v_dual_cndmask_b32 v20, v20, v151 :: v_dual_and_b32 v151, 0x80000000, v161
	s_delay_alu instid0(VALU_DEP_1) | instskip(NEXT) | instid1(VALU_DEP_1)
	v_lshlrev_b32_e32 v20, 21, v20
	v_or3_b32 v20, v151, v150, v20
.LBB4_279:                              ;   in Loop: Header=BB4_130 Depth=3
	s_or_b32 exec_lo, exec_lo, s21
	s_delay_alu instid0(VALU_DEP_1) | instskip(NEXT) | instid1(VALU_DEP_1)
	v_dual_max_f32 v20, v20, v20 :: v_dual_max_f32 v19, v19, v19
	v_min_f32_e32 v20, v19, v20
.LBB4_280:                              ;   in Loop: Header=BB4_130 Depth=3
	s_or_b32 exec_lo, exec_lo, s9
	s_delay_alu instid0(VALU_DEP_1) | instskip(NEXT) | instid1(VALU_DEP_1)
	v_dual_mov_b32 v19, v21 :: v_dual_and_b32 v150, 0x7f800000, v20
	v_cmp_ne_u32_e32 vcc_lo, 0x7f800000, v150
	v_mov_b32_e32 v150, 0x80
	s_and_saveexec_b32 s10, vcc_lo
	s_cbranch_execz .LBB4_288
; %bb.281:                              ;   in Loop: Header=BB4_130 Depth=3
	v_mov_b32_e32 v150, 0
	s_mov_b32 s21, exec_lo
	v_cmpx_ne_u32_e32 0, v20
	s_cbranch_execz .LBB4_287
; %bb.282:                              ;   in Loop: Header=BB4_130 Depth=3
	v_bfe_u32 v150, v20, 23, 8
	v_and_b32_e32 v151, 0x7fffff, v20
	s_delay_alu instid0(VALU_DEP_2) | instskip(SKIP_1) | instid1(VALU_DEP_3)
	v_sub_nc_u32_e32 v160, 0x70, v150
	v_cmp_gt_u32_e32 vcc_lo, 0x71, v150
	v_or_b32_e32 v161, 0x800000, v151
	s_delay_alu instid0(VALU_DEP_3) | instskip(SKIP_1) | instid1(VALU_DEP_3)
	v_cndmask_b32_e32 v160, 0, v160, vcc_lo
	v_cmp_eq_u32_e32 vcc_lo, 0, v150
	v_dual_cndmask_b32 v151, v161, v151 :: v_dual_add_nc_u32 v150, 0xffffff91, v150
	s_delay_alu instid0(VALU_DEP_3) | instskip(NEXT) | instid1(VALU_DEP_2)
	v_cndmask_b32_e64 v160, v160, 0x6f, vcc_lo
	v_cndmask_b32_e64 v150, v150, 0xffffff92, vcc_lo
	s_delay_alu instid0(VALU_DEP_2) | instskip(SKIP_2) | instid1(VALU_DEP_4)
	v_lshrrev_b32_e32 v162, v160, v151
	v_lshl_add_u32 v161, 0x200000, v160, -1
	v_lshlrev_b32_e64 v164, v160, 0x100000
	v_add_nc_u32_e32 v160, v160, v150
	s_delay_alu instid0(VALU_DEP_4) | instskip(NEXT) | instid1(VALU_DEP_4)
	v_bfe_u32 v163, v162, 21, 1
	v_and_b32_e32 v151, v161, v151
	s_delay_alu instid0(VALU_DEP_2) | instskip(NEXT) | instid1(VALU_DEP_2)
	v_add_nc_u32_e32 v161, -1, v163
	v_cmp_eq_u32_e64 s9, v151, v164
	s_delay_alu instid0(VALU_DEP_1) | instskip(SKIP_2) | instid1(VALU_DEP_2)
	v_cndmask_b32_e64 v151, 0, v161, s9
	v_lshrrev_b32_e32 v161, 23, v162
	s_mov_b32 s9, exec_lo
	v_add_nc_u32_e32 v151, v151, v162
	s_delay_alu instid0(VALU_DEP_2) | instskip(NEXT) | instid1(VALU_DEP_2)
	v_xor_b32_e32 v161, 1, v161
	v_and_b32_e32 v150, 0x1fffff, v151
	s_delay_alu instid0(VALU_DEP_1) | instskip(NEXT) | instid1(VALU_DEP_3)
	v_add_nc_u32_e32 v151, v150, v162
                                        ; implicit-def: $vgpr150
	v_cmpx_ne_u32_e64 v160, v161
	s_xor_b32 s9, exec_lo, s9
; %bb.283:                              ;   in Loop: Header=BB4_130 Depth=3
	s_delay_alu instid0(VALU_DEP_2) | instskip(SKIP_2) | instid1(VALU_DEP_2)
	v_cmp_lt_u32_e32 vcc_lo, 0xffffff, v151
	v_sub_nc_u32_e32 v150, v160, v161
	v_cndmask_b32_e64 v160, 0, 1, vcc_lo
	v_add_co_ci_u32_e32 v150, vcc_lo, 0, v150, vcc_lo
	s_delay_alu instid0(VALU_DEP_2)
	v_lshrrev_b32_e32 v151, v160, v151
; %bb.284:                              ;   in Loop: Header=BB4_130 Depth=3
	s_and_not1_saveexec_b32 s9, s9
; %bb.285:                              ;   in Loop: Header=BB4_130 Depth=3
	s_delay_alu instid0(VALU_DEP_1)
	v_bfe_u32 v150, v151, 23, 1
; %bb.286:                              ;   in Loop: Header=BB4_130 Depth=3
	s_or_b32 exec_lo, exec_lo, s9
	v_lshrrev_b32_e32 v151, 21, v151
	s_delay_alu instid0(VALU_DEP_2) | instskip(SKIP_2) | instid1(VALU_DEP_2)
	v_cmp_gt_i32_e32 vcc_lo, 32, v150
	v_lshrrev_b32_e32 v20, 24, v20
	v_min_i32_e32 v160, 31, v150
	v_dual_cndmask_b32 v151, 3, v151 :: v_dual_and_b32 v20, 0x80, v20
	s_delay_alu instid0(VALU_DEP_2) | instskip(NEXT) | instid1(VALU_DEP_2)
	v_lshlrev_b32_e32 v160, 2, v160
	v_or_b32_e32 v150, v150, v151
	s_delay_alu instid0(VALU_DEP_1) | instskip(SKIP_1) | instid1(VALU_DEP_1)
	v_cmp_ne_u32_e32 vcc_lo, 0, v150
	v_and_b32_e32 v161, 3, v151
	v_or3_b32 v20, v160, v20, v161
	s_delay_alu instid0(VALU_DEP_1)
	v_cndmask_b32_e32 v150, 0, v20, vcc_lo
.LBB4_287:                              ;   in Loop: Header=BB4_130 Depth=3
	s_or_b32 exec_lo, exec_lo, s21
.LBB4_288:                              ;   in Loop: Header=BB4_130 Depth=3
	s_delay_alu instid0(SALU_CYCLE_1) | instskip(SKIP_3) | instid1(SALU_CYCLE_1)
	s_or_b32 exec_lo, exec_lo, s10
	v_lshrrev_b16 v160, 8, v19
	v_lshrrev_b16 v151, 8, v97
                                        ; implicit-def: $vgpr161
	s_and_saveexec_b32 s9, s6
	s_xor_b32 s9, exec_lo, s9
	s_cbranch_execz .LBB4_298
; %bb.289:                              ;   in Loop: Header=BB4_130 Depth=3
	s_mov_b32 s10, 0
	s_mov_b32 s22, exec_lo
                                        ; implicit-def: $sgpr21
	v_cmpx_lt_i16_e64 0x7f, v160
	s_xor_b32 s22, exec_lo, s22
	s_cbranch_execnz .LBB4_450
; %bb.290:                              ;   in Loop: Header=BB4_130 Depth=3
	s_or_saveexec_b32 s22, s22
	v_mov_b32_e32 v20, s21
	s_xor_b32 exec_lo, exec_lo, s22
	s_cbranch_execnz .LBB4_453
.LBB4_291:                              ;   in Loop: Header=BB4_130 Depth=3
	s_or_b32 exec_lo, exec_lo, s22
	s_and_saveexec_b32 s21, s10
	s_cbranch_execz .LBB4_293
.LBB4_292:                              ;   in Loop: Header=BB4_130 Depth=3
	v_and_b32_e32 v20, 0xffff, v160
	s_delay_alu instid0(VALU_DEP_1) | instskip(NEXT) | instid1(VALU_DEP_1)
	v_and_b32_e32 v160, 3, v20
	v_clz_i32_u32_e32 v161, v160
	s_delay_alu instid0(VALU_DEP_1) | instskip(NEXT) | instid1(VALU_DEP_1)
	v_min_u32_e32 v161, 32, v161
	v_subrev_nc_u32_e32 v162, 29, v161
	v_sub_nc_u32_e32 v161, 30, v161
	s_delay_alu instid0(VALU_DEP_2) | instskip(SKIP_1) | instid1(VALU_DEP_2)
	v_lshlrev_b32_e32 v162, v162, v20
	v_bfe_u32 v20, v20, 2, 5
	v_and_b32_e32 v162, 3, v162
	s_delay_alu instid0(VALU_DEP_2) | instskip(SKIP_1) | instid1(VALU_DEP_1)
	v_cmp_eq_u32_e32 vcc_lo, 0, v20
	v_dual_cndmask_b32 v20, v20, v161 :: v_dual_lshlrev_b32 v19, 16, v19
	v_dual_cndmask_b32 v160, v160, v162 :: v_dual_and_b32 v19, 0x80000000, v19
	s_delay_alu instid0(VALU_DEP_2) | instskip(NEXT) | instid1(VALU_DEP_2)
	v_lshl_add_u32 v20, v20, 23, 0x37800000
	v_lshlrev_b32_e32 v160, 21, v160
	s_delay_alu instid0(VALU_DEP_1)
	v_or3_b32 v20, v19, v20, v160
.LBB4_293:                              ;   in Loop: Header=BB4_130 Depth=3
	s_or_b32 exec_lo, exec_lo, s21
	s_mov_b32 s10, 0
	s_mov_b32 s22, exec_lo
                                        ; implicit-def: $sgpr21
	v_cmpx_lt_i16_e64 0x7f, v151
	s_xor_b32 s22, exec_lo, s22
	s_cbranch_execnz .LBB4_454
; %bb.294:                              ;   in Loop: Header=BB4_130 Depth=3
	s_or_saveexec_b32 s22, s22
	v_mov_b32_e32 v19, s21
	s_xor_b32 exec_lo, exec_lo, s22
	s_cbranch_execnz .LBB4_457
.LBB4_295:                              ;   in Loop: Header=BB4_130 Depth=3
	s_or_b32 exec_lo, exec_lo, s22
	s_and_saveexec_b32 s21, s10
	s_cbranch_execz .LBB4_297
.LBB4_296:                              ;   in Loop: Header=BB4_130 Depth=3
	v_and_b32_e32 v19, 0xffff, v151
	s_delay_alu instid0(VALU_DEP_1) | instskip(NEXT) | instid1(VALU_DEP_1)
	v_and_b32_e32 v151, 3, v19
	v_clz_i32_u32_e32 v160, v151
	s_delay_alu instid0(VALU_DEP_1) | instskip(NEXT) | instid1(VALU_DEP_1)
	v_min_u32_e32 v160, 32, v160
	v_subrev_nc_u32_e32 v161, 29, v160
	v_sub_nc_u32_e32 v160, 30, v160
	s_delay_alu instid0(VALU_DEP_2) | instskip(SKIP_1) | instid1(VALU_DEP_2)
	v_lshlrev_b32_e32 v161, v161, v19
	v_bfe_u32 v19, v19, 2, 5
	v_and_b32_e32 v161, 3, v161
	s_delay_alu instid0(VALU_DEP_2) | instskip(SKIP_1) | instid1(VALU_DEP_1)
	v_cmp_eq_u32_e32 vcc_lo, 0, v19
	v_dual_cndmask_b32 v19, v19, v160 :: v_dual_lshlrev_b32 v162, 16, v97
	v_dual_cndmask_b32 v151, v151, v161 :: v_dual_and_b32 v160, 0x80000000, v162
	s_delay_alu instid0(VALU_DEP_2) | instskip(NEXT) | instid1(VALU_DEP_2)
	v_lshl_add_u32 v19, v19, 23, 0x37800000
	v_lshlrev_b32_e32 v151, 21, v151
	s_delay_alu instid0(VALU_DEP_1)
	v_or3_b32 v19, v160, v19, v151
.LBB4_297:                              ;   in Loop: Header=BB4_130 Depth=3
	s_or_b32 exec_lo, exec_lo, s21
	s_delay_alu instid0(VALU_DEP_1) | instskip(NEXT) | instid1(VALU_DEP_1)
	v_dual_max_f32 v19, v19, v19 :: v_dual_max_f32 v20, v20, v20
                                        ; implicit-def: $vgpr151
                                        ; implicit-def: $vgpr160
	v_max_f32_e32 v161, v20, v19
                                        ; implicit-def: $vgpr19_vgpr20
.LBB4_298:                              ;   in Loop: Header=BB4_130 Depth=3
	s_and_not1_saveexec_b32 s9, s9
	s_cbranch_execz .LBB4_308
; %bb.299:                              ;   in Loop: Header=BB4_130 Depth=3
	s_mov_b32 s10, 0
	s_mov_b32 s22, exec_lo
                                        ; implicit-def: $sgpr21
	v_cmpx_lt_i16_e64 0x7f, v160
	s_xor_b32 s22, exec_lo, s22
	s_cbranch_execnz .LBB4_458
; %bb.300:                              ;   in Loop: Header=BB4_130 Depth=3
	s_or_saveexec_b32 s22, s22
	v_mov_b32_e32 v20, s21
	s_xor_b32 exec_lo, exec_lo, s22
	s_cbranch_execnz .LBB4_461
.LBB4_301:                              ;   in Loop: Header=BB4_130 Depth=3
	s_or_b32 exec_lo, exec_lo, s22
	s_and_saveexec_b32 s21, s10
	s_cbranch_execz .LBB4_303
.LBB4_302:                              ;   in Loop: Header=BB4_130 Depth=3
	v_and_b32_e32 v20, 0xffff, v160
	s_delay_alu instid0(VALU_DEP_1) | instskip(NEXT) | instid1(VALU_DEP_1)
	v_and_b32_e32 v160, 3, v20
	v_clz_i32_u32_e32 v161, v160
	s_delay_alu instid0(VALU_DEP_1) | instskip(NEXT) | instid1(VALU_DEP_1)
	v_min_u32_e32 v161, 32, v161
	v_subrev_nc_u32_e32 v162, 29, v161
	v_sub_nc_u32_e32 v161, 30, v161
	s_delay_alu instid0(VALU_DEP_2) | instskip(SKIP_1) | instid1(VALU_DEP_2)
	v_lshlrev_b32_e32 v162, v162, v20
	v_bfe_u32 v20, v20, 2, 5
	v_and_b32_e32 v162, 3, v162
	s_delay_alu instid0(VALU_DEP_2) | instskip(SKIP_1) | instid1(VALU_DEP_1)
	v_cmp_eq_u32_e32 vcc_lo, 0, v20
	v_dual_cndmask_b32 v20, v20, v161 :: v_dual_lshlrev_b32 v19, 16, v19
	v_dual_cndmask_b32 v160, v160, v162 :: v_dual_and_b32 v19, 0x80000000, v19
	s_delay_alu instid0(VALU_DEP_2) | instskip(NEXT) | instid1(VALU_DEP_2)
	v_lshl_add_u32 v20, v20, 23, 0x37800000
	v_lshlrev_b32_e32 v160, 21, v160
	s_delay_alu instid0(VALU_DEP_1)
	v_or3_b32 v20, v19, v20, v160
.LBB4_303:                              ;   in Loop: Header=BB4_130 Depth=3
	s_or_b32 exec_lo, exec_lo, s21
	s_mov_b32 s10, 0
	s_mov_b32 s22, exec_lo
                                        ; implicit-def: $sgpr21
	v_cmpx_lt_i16_e64 0x7f, v151
	s_xor_b32 s22, exec_lo, s22
	s_cbranch_execnz .LBB4_462
; %bb.304:                              ;   in Loop: Header=BB4_130 Depth=3
	s_or_saveexec_b32 s22, s22
	v_mov_b32_e32 v19, s21
	s_xor_b32 exec_lo, exec_lo, s22
	s_cbranch_execnz .LBB4_465
.LBB4_305:                              ;   in Loop: Header=BB4_130 Depth=3
	s_or_b32 exec_lo, exec_lo, s22
	s_and_saveexec_b32 s21, s10
	s_cbranch_execz .LBB4_307
.LBB4_306:                              ;   in Loop: Header=BB4_130 Depth=3
	v_and_b32_e32 v19, 0xffff, v151
	s_delay_alu instid0(VALU_DEP_1) | instskip(NEXT) | instid1(VALU_DEP_1)
	v_and_b32_e32 v151, 3, v19
	v_clz_i32_u32_e32 v160, v151
	s_delay_alu instid0(VALU_DEP_1) | instskip(NEXT) | instid1(VALU_DEP_1)
	v_min_u32_e32 v160, 32, v160
	v_subrev_nc_u32_e32 v161, 29, v160
	v_sub_nc_u32_e32 v160, 30, v160
	s_delay_alu instid0(VALU_DEP_2) | instskip(SKIP_1) | instid1(VALU_DEP_2)
	v_lshlrev_b32_e32 v161, v161, v19
	v_bfe_u32 v19, v19, 2, 5
	v_and_b32_e32 v161, 3, v161
	s_delay_alu instid0(VALU_DEP_2) | instskip(SKIP_1) | instid1(VALU_DEP_1)
	v_cmp_eq_u32_e32 vcc_lo, 0, v19
	v_dual_cndmask_b32 v19, v19, v160 :: v_dual_lshlrev_b32 v162, 16, v97
	v_dual_cndmask_b32 v151, v151, v161 :: v_dual_and_b32 v160, 0x80000000, v162
	s_delay_alu instid0(VALU_DEP_2) | instskip(NEXT) | instid1(VALU_DEP_2)
	v_lshl_add_u32 v19, v19, 23, 0x37800000
	v_lshlrev_b32_e32 v151, 21, v151
	s_delay_alu instid0(VALU_DEP_1)
	v_or3_b32 v19, v160, v19, v151
.LBB4_307:                              ;   in Loop: Header=BB4_130 Depth=3
	s_or_b32 exec_lo, exec_lo, s21
	s_delay_alu instid0(VALU_DEP_1) | instskip(NEXT) | instid1(VALU_DEP_1)
	v_dual_max_f32 v19, v19, v19 :: v_dual_max_f32 v20, v20, v20
	v_min_f32_e32 v161, v20, v19
.LBB4_308:                              ;   in Loop: Header=BB4_130 Depth=3
	s_or_b32 exec_lo, exec_lo, s9
	s_delay_alu instid0(VALU_DEP_1) | instskip(NEXT) | instid1(VALU_DEP_1)
	v_and_b32_e32 v19, 0x7f800000, v161
	v_cmp_ne_u32_e32 vcc_lo, 0x7f800000, v19
	v_mov_b32_e32 v19, 0x80
	s_and_saveexec_b32 s10, vcc_lo
	s_cbranch_execz .LBB4_316
; %bb.309:                              ;   in Loop: Header=BB4_130 Depth=3
	v_mov_b32_e32 v19, 0
	s_mov_b32 s21, exec_lo
	v_cmpx_ne_u32_e32 0, v161
	s_cbranch_execz .LBB4_315
; %bb.310:                              ;   in Loop: Header=BB4_130 Depth=3
	v_bfe_u32 v19, v161, 23, 8
	s_delay_alu instid0(VALU_DEP_1) | instskip(SKIP_1) | instid1(VALU_DEP_2)
	v_sub_nc_u32_e32 v151, 0x70, v19
	v_cmp_gt_u32_e32 vcc_lo, 0x71, v19
	v_dual_cndmask_b32 v151, 0, v151 :: v_dual_and_b32 v20, 0x7fffff, v161
	s_delay_alu instid0(VALU_DEP_1) | instskip(SKIP_2) | instid1(VALU_DEP_4)
	v_or_b32_e32 v160, 0x800000, v20
	v_cmp_eq_u32_e32 vcc_lo, 0, v19
	v_add_nc_u32_e32 v19, 0xffffff91, v19
	v_cndmask_b32_e64 v151, v151, 0x6f, vcc_lo
	s_delay_alu instid0(VALU_DEP_4) | instskip(NEXT) | instid1(VALU_DEP_3)
	v_cndmask_b32_e32 v20, v160, v20, vcc_lo
	v_cndmask_b32_e64 v19, v19, 0xffffff92, vcc_lo
	s_delay_alu instid0(VALU_DEP_3) | instskip(NEXT) | instid1(VALU_DEP_3)
	v_lshl_add_u32 v160, 0x200000, v151, -1
	v_lshrrev_b32_e32 v162, v151, v20
	v_lshlrev_b32_e64 v164, v151, 0x100000
	s_delay_alu instid0(VALU_DEP_4) | instskip(NEXT) | instid1(VALU_DEP_4)
	v_add_nc_u32_e32 v151, v151, v19
	v_and_b32_e32 v20, v160, v20
	s_delay_alu instid0(VALU_DEP_4) | instskip(NEXT) | instid1(VALU_DEP_2)
	v_bfe_u32 v163, v162, 21, 1
	v_cmp_eq_u32_e64 s9, v20, v164
	s_delay_alu instid0(VALU_DEP_2) | instskip(NEXT) | instid1(VALU_DEP_1)
	v_add_nc_u32_e32 v160, -1, v163
	v_cndmask_b32_e64 v20, 0, v160, s9
	v_lshrrev_b32_e32 v160, 23, v162
	s_mov_b32 s9, exec_lo
	s_delay_alu instid0(VALU_DEP_2) | instskip(NEXT) | instid1(VALU_DEP_2)
	v_add_nc_u32_e32 v20, v20, v162
	v_xor_b32_e32 v160, 1, v160
	s_delay_alu instid0(VALU_DEP_2) | instskip(NEXT) | instid1(VALU_DEP_1)
	v_and_b32_e32 v19, 0x1fffff, v20
	v_add_nc_u32_e32 v20, v19, v162
                                        ; implicit-def: $vgpr19
	s_delay_alu instid0(VALU_DEP_3)
	v_cmpx_ne_u32_e64 v151, v160
	s_xor_b32 s9, exec_lo, s9
; %bb.311:                              ;   in Loop: Header=BB4_130 Depth=3
	s_delay_alu instid0(VALU_DEP_2) | instskip(SKIP_2) | instid1(VALU_DEP_2)
	v_cmp_lt_u32_e32 vcc_lo, 0xffffff, v20
	v_sub_nc_u32_e32 v19, v151, v160
	v_cndmask_b32_e64 v151, 0, 1, vcc_lo
	v_add_co_ci_u32_e32 v19, vcc_lo, 0, v19, vcc_lo
	s_delay_alu instid0(VALU_DEP_2)
	v_lshrrev_b32_e32 v20, v151, v20
; %bb.312:                              ;   in Loop: Header=BB4_130 Depth=3
	s_and_not1_saveexec_b32 s9, s9
; %bb.313:                              ;   in Loop: Header=BB4_130 Depth=3
	s_delay_alu instid0(VALU_DEP_1)
	v_bfe_u32 v19, v20, 23, 1
; %bb.314:                              ;   in Loop: Header=BB4_130 Depth=3
	s_or_b32 exec_lo, exec_lo, s9
	v_lshrrev_b32_e32 v20, 21, v20
	s_delay_alu instid0(VALU_DEP_2) | instskip(SKIP_2) | instid1(VALU_DEP_2)
	v_cmp_gt_i32_e32 vcc_lo, 32, v19
	v_lshrrev_b32_e32 v151, 24, v161
	v_min_i32_e32 v160, 31, v19
	v_dual_cndmask_b32 v20, 3, v20 :: v_dual_and_b32 v151, 0x80, v151
	s_delay_alu instid0(VALU_DEP_2) | instskip(NEXT) | instid1(VALU_DEP_2)
	v_lshlrev_b32_e32 v160, 2, v160
	v_and_b32_e32 v161, 3, v20
	v_or_b32_e32 v19, v19, v20
	s_delay_alu instid0(VALU_DEP_2) | instskip(NEXT) | instid1(VALU_DEP_2)
	v_or3_b32 v20, v160, v151, v161
	v_cmp_ne_u32_e32 vcc_lo, 0, v19
	s_delay_alu instid0(VALU_DEP_2)
	v_cndmask_b32_e32 v19, 0, v20, vcc_lo
.LBB4_315:                              ;   in Loop: Header=BB4_130 Depth=3
	s_or_b32 exec_lo, exec_lo, s21
.LBB4_316:                              ;   in Loop: Header=BB4_130 Depth=3
	s_delay_alu instid0(SALU_CYCLE_1) | instskip(SKIP_3) | instid1(SALU_CYCLE_1)
	s_or_b32 exec_lo, exec_lo, s10
	v_lshrrev_b32_e32 v151, 16, v21
	v_lshrrev_b32_e32 v20, 16, v97
                                        ; implicit-def: $vgpr160
	s_and_saveexec_b32 s9, s6
	s_xor_b32 s9, exec_lo, s9
	s_cbranch_execz .LBB4_326
; %bb.317:                              ;   in Loop: Header=BB4_130 Depth=3
	v_and_b32_e32 v161, 0xff, v151
	s_mov_b32 s10, 0
	s_mov_b32 s22, exec_lo
                                        ; implicit-def: $sgpr21
	s_delay_alu instid0(VALU_DEP_1)
	v_cmpx_lt_i16_e64 0x7f, v161
	s_xor_b32 s22, exec_lo, s22
	s_cbranch_execnz .LBB4_466
; %bb.318:                              ;   in Loop: Header=BB4_130 Depth=3
	s_or_saveexec_b32 s22, s22
	v_mov_b32_e32 v160, s21
	s_xor_b32 exec_lo, exec_lo, s22
	s_cbranch_execnz .LBB4_469
.LBB4_319:                              ;   in Loop: Header=BB4_130 Depth=3
	s_or_b32 exec_lo, exec_lo, s22
	s_and_saveexec_b32 s21, s10
	s_cbranch_execz .LBB4_321
.LBB4_320:                              ;   in Loop: Header=BB4_130 Depth=3
	v_bfe_u32 v160, v21, 16, 2
	v_bfe_u32 v163, v21, 18, 5
	s_delay_alu instid0(VALU_DEP_2) | instskip(NEXT) | instid1(VALU_DEP_2)
	v_clz_i32_u32_e32 v161, v160
	v_cmp_eq_u32_e32 vcc_lo, 0, v163
	s_delay_alu instid0(VALU_DEP_2) | instskip(NEXT) | instid1(VALU_DEP_1)
	v_min_u32_e32 v161, 32, v161
	v_subrev_nc_u32_e32 v162, 29, v161
	v_sub_nc_u32_e32 v161, 30, v161
	s_delay_alu instid0(VALU_DEP_1) | instskip(NEXT) | instid1(VALU_DEP_1)
	v_dual_cndmask_b32 v161, v163, v161 :: v_dual_lshlrev_b32 v162, v162, v151
	v_and_b32_e32 v162, 3, v162
	v_lshlrev_b32_e32 v151, 24, v151
	s_delay_alu instid0(VALU_DEP_3) | instskip(NEXT) | instid1(VALU_DEP_2)
	v_lshl_add_u32 v161, v161, 23, 0x37800000
	v_dual_cndmask_b32 v160, v160, v162 :: v_dual_and_b32 v151, 0x80000000, v151
	s_delay_alu instid0(VALU_DEP_1) | instskip(NEXT) | instid1(VALU_DEP_1)
	v_lshlrev_b32_e32 v160, 21, v160
	v_or3_b32 v160, v151, v161, v160
.LBB4_321:                              ;   in Loop: Header=BB4_130 Depth=3
	s_or_b32 exec_lo, exec_lo, s21
	v_and_b32_e32 v161, 0xff, v20
	s_mov_b32 s10, 0
	s_mov_b32 s22, exec_lo
                                        ; implicit-def: $sgpr21
	s_delay_alu instid0(VALU_DEP_1)
	v_cmpx_lt_i16_e64 0x7f, v161
	s_xor_b32 s22, exec_lo, s22
	s_cbranch_execnz .LBB4_470
; %bb.322:                              ;   in Loop: Header=BB4_130 Depth=3
	s_or_saveexec_b32 s22, s22
	v_mov_b32_e32 v151, s21
	s_xor_b32 exec_lo, exec_lo, s22
	s_cbranch_execnz .LBB4_473
.LBB4_323:                              ;   in Loop: Header=BB4_130 Depth=3
	s_or_b32 exec_lo, exec_lo, s22
	s_and_saveexec_b32 s21, s10
	s_cbranch_execz .LBB4_325
.LBB4_324:                              ;   in Loop: Header=BB4_130 Depth=3
	v_bfe_u32 v151, v97, 16, 2
	v_bfe_u32 v163, v97, 18, 5
	s_delay_alu instid0(VALU_DEP_2) | instskip(NEXT) | instid1(VALU_DEP_2)
	v_clz_i32_u32_e32 v161, v151
	v_cmp_eq_u32_e32 vcc_lo, 0, v163
	s_delay_alu instid0(VALU_DEP_2) | instskip(NEXT) | instid1(VALU_DEP_1)
	v_min_u32_e32 v161, 32, v161
	v_subrev_nc_u32_e32 v162, 29, v161
	v_sub_nc_u32_e32 v161, 30, v161
	s_delay_alu instid0(VALU_DEP_1) | instskip(NEXT) | instid1(VALU_DEP_1)
	v_dual_cndmask_b32 v161, v163, v161 :: v_dual_lshlrev_b32 v162, v162, v20
	v_and_b32_e32 v162, 3, v162
	v_lshlrev_b32_e32 v20, 24, v20
	s_delay_alu instid0(VALU_DEP_3) | instskip(NEXT) | instid1(VALU_DEP_2)
	v_lshl_add_u32 v161, v161, 23, 0x37800000
	v_dual_cndmask_b32 v151, v151, v162 :: v_dual_and_b32 v20, 0x80000000, v20
	s_delay_alu instid0(VALU_DEP_1) | instskip(NEXT) | instid1(VALU_DEP_1)
	v_lshlrev_b32_e32 v151, 21, v151
	v_or3_b32 v151, v20, v161, v151
.LBB4_325:                              ;   in Loop: Header=BB4_130 Depth=3
	s_or_b32 exec_lo, exec_lo, s21
	s_delay_alu instid0(VALU_DEP_1) | instskip(NEXT) | instid1(VALU_DEP_1)
	v_dual_max_f32 v20, v151, v151 :: v_dual_max_f32 v151, v160, v160
	v_max_f32_e32 v160, v151, v20
                                        ; implicit-def: $vgpr20
                                        ; implicit-def: $vgpr151
.LBB4_326:                              ;   in Loop: Header=BB4_130 Depth=3
	s_and_not1_saveexec_b32 s9, s9
	s_cbranch_execz .LBB4_336
; %bb.327:                              ;   in Loop: Header=BB4_130 Depth=3
	v_and_b32_e32 v161, 0xff, v151
	s_mov_b32 s10, 0
	s_mov_b32 s22, exec_lo
                                        ; implicit-def: $sgpr21
	s_delay_alu instid0(VALU_DEP_1)
	v_cmpx_lt_i16_e64 0x7f, v161
	s_xor_b32 s22, exec_lo, s22
	s_cbranch_execnz .LBB4_474
; %bb.328:                              ;   in Loop: Header=BB4_130 Depth=3
	s_or_saveexec_b32 s22, s22
	v_mov_b32_e32 v160, s21
	s_xor_b32 exec_lo, exec_lo, s22
	s_cbranch_execnz .LBB4_477
.LBB4_329:                              ;   in Loop: Header=BB4_130 Depth=3
	s_or_b32 exec_lo, exec_lo, s22
	s_and_saveexec_b32 s21, s10
	s_cbranch_execz .LBB4_331
.LBB4_330:                              ;   in Loop: Header=BB4_130 Depth=3
	v_bfe_u32 v160, v21, 16, 2
	v_bfe_u32 v163, v21, 18, 5
	s_delay_alu instid0(VALU_DEP_2) | instskip(NEXT) | instid1(VALU_DEP_2)
	v_clz_i32_u32_e32 v161, v160
	v_cmp_eq_u32_e32 vcc_lo, 0, v163
	s_delay_alu instid0(VALU_DEP_2) | instskip(NEXT) | instid1(VALU_DEP_1)
	v_min_u32_e32 v161, 32, v161
	v_subrev_nc_u32_e32 v162, 29, v161
	v_sub_nc_u32_e32 v161, 30, v161
	s_delay_alu instid0(VALU_DEP_1) | instskip(NEXT) | instid1(VALU_DEP_1)
	v_dual_cndmask_b32 v161, v163, v161 :: v_dual_lshlrev_b32 v162, v162, v151
	v_and_b32_e32 v162, 3, v162
	v_lshlrev_b32_e32 v151, 24, v151
	s_delay_alu instid0(VALU_DEP_3) | instskip(NEXT) | instid1(VALU_DEP_2)
	v_lshl_add_u32 v161, v161, 23, 0x37800000
	v_dual_cndmask_b32 v160, v160, v162 :: v_dual_and_b32 v151, 0x80000000, v151
	s_delay_alu instid0(VALU_DEP_1) | instskip(NEXT) | instid1(VALU_DEP_1)
	v_lshlrev_b32_e32 v160, 21, v160
	v_or3_b32 v160, v151, v161, v160
.LBB4_331:                              ;   in Loop: Header=BB4_130 Depth=3
	s_or_b32 exec_lo, exec_lo, s21
	v_and_b32_e32 v161, 0xff, v20
	s_mov_b32 s10, 0
	s_mov_b32 s22, exec_lo
                                        ; implicit-def: $sgpr21
	s_delay_alu instid0(VALU_DEP_1)
	v_cmpx_lt_i16_e64 0x7f, v161
	s_xor_b32 s22, exec_lo, s22
	s_cbranch_execnz .LBB4_478
; %bb.332:                              ;   in Loop: Header=BB4_130 Depth=3
	s_or_saveexec_b32 s22, s22
	v_mov_b32_e32 v151, s21
	s_xor_b32 exec_lo, exec_lo, s22
	s_cbranch_execnz .LBB4_481
.LBB4_333:                              ;   in Loop: Header=BB4_130 Depth=3
	s_or_b32 exec_lo, exec_lo, s22
	s_and_saveexec_b32 s21, s10
	s_cbranch_execz .LBB4_335
.LBB4_334:                              ;   in Loop: Header=BB4_130 Depth=3
	v_bfe_u32 v151, v97, 16, 2
	v_bfe_u32 v163, v97, 18, 5
	s_delay_alu instid0(VALU_DEP_2) | instskip(NEXT) | instid1(VALU_DEP_2)
	v_clz_i32_u32_e32 v161, v151
	v_cmp_eq_u32_e32 vcc_lo, 0, v163
	s_delay_alu instid0(VALU_DEP_2) | instskip(NEXT) | instid1(VALU_DEP_1)
	v_min_u32_e32 v161, 32, v161
	v_subrev_nc_u32_e32 v162, 29, v161
	v_sub_nc_u32_e32 v161, 30, v161
	s_delay_alu instid0(VALU_DEP_1) | instskip(NEXT) | instid1(VALU_DEP_1)
	v_dual_cndmask_b32 v161, v163, v161 :: v_dual_lshlrev_b32 v162, v162, v20
	v_and_b32_e32 v162, 3, v162
	v_lshlrev_b32_e32 v20, 24, v20
	s_delay_alu instid0(VALU_DEP_3) | instskip(NEXT) | instid1(VALU_DEP_2)
	v_lshl_add_u32 v161, v161, 23, 0x37800000
	v_dual_cndmask_b32 v151, v151, v162 :: v_dual_and_b32 v20, 0x80000000, v20
	s_delay_alu instid0(VALU_DEP_1) | instskip(NEXT) | instid1(VALU_DEP_1)
	v_lshlrev_b32_e32 v151, 21, v151
	v_or3_b32 v151, v20, v161, v151
.LBB4_335:                              ;   in Loop: Header=BB4_130 Depth=3
	s_or_b32 exec_lo, exec_lo, s21
	s_delay_alu instid0(VALU_DEP_1) | instskip(NEXT) | instid1(VALU_DEP_1)
	v_dual_max_f32 v20, v151, v151 :: v_dual_max_f32 v151, v160, v160
	v_min_f32_e32 v160, v151, v20
.LBB4_336:                              ;   in Loop: Header=BB4_130 Depth=3
	s_or_b32 exec_lo, exec_lo, s9
	s_delay_alu instid0(VALU_DEP_1) | instskip(SKIP_2) | instid1(VALU_DEP_2)
	v_and_b32_e32 v20, 0x7f800000, v160
	v_mov_b32_e32 v151, 0x80
	s_mov_b32 s10, exec_lo
	v_cmpx_ne_u32_e32 0x7f800000, v20
	s_cbranch_execz .LBB4_344
; %bb.337:                              ;   in Loop: Header=BB4_130 Depth=3
	v_mov_b32_e32 v151, 0
	s_mov_b32 s21, exec_lo
	v_cmpx_ne_u32_e32 0, v160
	s_cbranch_execz .LBB4_343
; %bb.338:                              ;   in Loop: Header=BB4_130 Depth=3
	v_bfe_u32 v20, v160, 23, 8
	v_and_b32_e32 v151, 0x7fffff, v160
	s_delay_alu instid0(VALU_DEP_2) | instskip(SKIP_1) | instid1(VALU_DEP_3)
	v_sub_nc_u32_e32 v161, 0x70, v20
	v_cmp_gt_u32_e32 vcc_lo, 0x71, v20
	v_or_b32_e32 v162, 0x800000, v151
	s_delay_alu instid0(VALU_DEP_3) | instskip(SKIP_2) | instid1(VALU_DEP_3)
	v_cndmask_b32_e32 v161, 0, v161, vcc_lo
	v_cmp_eq_u32_e32 vcc_lo, 0, v20
	v_add_nc_u32_e32 v20, 0xffffff91, v20
	v_cndmask_b32_e64 v161, v161, 0x6f, vcc_lo
	v_cndmask_b32_e32 v151, v162, v151, vcc_lo
	s_delay_alu instid0(VALU_DEP_3) | instskip(NEXT) | instid1(VALU_DEP_3)
	v_cndmask_b32_e64 v20, v20, 0xffffff92, vcc_lo
	v_lshl_add_u32 v162, 0x200000, v161, -1
	s_delay_alu instid0(VALU_DEP_3) | instskip(SKIP_1) | instid1(VALU_DEP_4)
	v_lshrrev_b32_e32 v163, v161, v151
	v_lshlrev_b32_e64 v165, v161, 0x100000
	v_add_nc_u32_e32 v161, v161, v20
	s_delay_alu instid0(VALU_DEP_4) | instskip(NEXT) | instid1(VALU_DEP_4)
	v_and_b32_e32 v151, v162, v151
	v_bfe_u32 v164, v163, 21, 1
	s_delay_alu instid0(VALU_DEP_2) | instskip(NEXT) | instid1(VALU_DEP_2)
	v_cmp_eq_u32_e64 s9, v151, v165
	v_add_nc_u32_e32 v162, -1, v164
	s_delay_alu instid0(VALU_DEP_1) | instskip(SKIP_2) | instid1(VALU_DEP_2)
	v_cndmask_b32_e64 v151, 0, v162, s9
	v_lshrrev_b32_e32 v162, 23, v163
	s_mov_b32 s9, exec_lo
	v_add_nc_u32_e32 v151, v151, v163
	s_delay_alu instid0(VALU_DEP_2) | instskip(NEXT) | instid1(VALU_DEP_2)
	v_xor_b32_e32 v162, 1, v162
	v_and_b32_e32 v20, 0x1fffff, v151
	s_delay_alu instid0(VALU_DEP_1) | instskip(NEXT) | instid1(VALU_DEP_3)
	v_add_nc_u32_e32 v151, v20, v163
                                        ; implicit-def: $vgpr20
	v_cmpx_ne_u32_e64 v161, v162
	s_xor_b32 s9, exec_lo, s9
; %bb.339:                              ;   in Loop: Header=BB4_130 Depth=3
	s_delay_alu instid0(VALU_DEP_2) | instskip(SKIP_2) | instid1(VALU_DEP_2)
	v_cmp_lt_u32_e32 vcc_lo, 0xffffff, v151
	v_sub_nc_u32_e32 v20, v161, v162
	v_cndmask_b32_e64 v161, 0, 1, vcc_lo
	v_add_co_ci_u32_e32 v20, vcc_lo, 0, v20, vcc_lo
	s_delay_alu instid0(VALU_DEP_2)
	v_lshrrev_b32_e32 v151, v161, v151
; %bb.340:                              ;   in Loop: Header=BB4_130 Depth=3
	s_and_not1_saveexec_b32 s9, s9
; %bb.341:                              ;   in Loop: Header=BB4_130 Depth=3
	s_delay_alu instid0(VALU_DEP_1)
	v_bfe_u32 v20, v151, 23, 1
; %bb.342:                              ;   in Loop: Header=BB4_130 Depth=3
	s_or_b32 exec_lo, exec_lo, s9
	v_lshrrev_b32_e32 v151, 21, v151
	s_delay_alu instid0(VALU_DEP_2) | instskip(SKIP_2) | instid1(VALU_DEP_3)
	v_min_i32_e32 v161, 31, v20
	v_cmp_gt_i32_e32 vcc_lo, 32, v20
	v_lshrrev_b32_e32 v160, 24, v160
	v_lshlrev_b32_e32 v161, 2, v161
	s_delay_alu instid0(VALU_DEP_2) | instskip(NEXT) | instid1(VALU_DEP_2)
	v_dual_cndmask_b32 v151, 3, v151 :: v_dual_and_b32 v160, 0x80, v160
	v_and_b32_e32 v161, 0xfc, v161
	s_delay_alu instid0(VALU_DEP_2) | instskip(SKIP_1) | instid1(VALU_DEP_2)
	v_and_b32_e32 v162, 3, v151
	v_or_b32_e32 v20, v20, v151
	v_or3_b32 v151, v161, v160, v162
	s_delay_alu instid0(VALU_DEP_2) | instskip(NEXT) | instid1(VALU_DEP_2)
	v_cmp_ne_u32_e32 vcc_lo, 0, v20
	v_cndmask_b32_e32 v151, 0, v151, vcc_lo
.LBB4_343:                              ;   in Loop: Header=BB4_130 Depth=3
	s_or_b32 exec_lo, exec_lo, s21
.LBB4_344:                              ;   in Loop: Header=BB4_130 Depth=3
	s_delay_alu instid0(SALU_CYCLE_1) | instskip(SKIP_3) | instid1(SALU_CYCLE_1)
	s_or_b32 exec_lo, exec_lo, s10
	v_lshrrev_b32_e32 v20, 24, v21
	v_lshrrev_b32_e32 v160, 24, v97
                                        ; implicit-def: $vgpr161
	s_and_saveexec_b32 s9, s6
	s_xor_b32 s9, exec_lo, s9
	s_cbranch_execz .LBB4_354
; %bb.345:                              ;   in Loop: Header=BB4_130 Depth=3
	s_mov_b32 s10, 0
	s_mov_b32 s22, exec_lo
                                        ; implicit-def: $sgpr21
	v_cmpx_lt_i16_e32 0x7f, v20
	s_xor_b32 s22, exec_lo, s22
	s_cbranch_execnz .LBB4_482
; %bb.346:                              ;   in Loop: Header=BB4_130 Depth=3
	s_or_saveexec_b32 s22, s22
	v_mov_b32_e32 v161, s21
	s_xor_b32 exec_lo, exec_lo, s22
	s_cbranch_execnz .LBB4_485
.LBB4_347:                              ;   in Loop: Header=BB4_130 Depth=3
	s_or_b32 exec_lo, exec_lo, s22
	s_and_saveexec_b32 s21, s10
	s_cbranch_execz .LBB4_349
.LBB4_348:                              ;   in Loop: Header=BB4_130 Depth=3
	v_bfe_u32 v161, v21, 24, 2
	s_delay_alu instid0(VALU_DEP_1) | instskip(NEXT) | instid1(VALU_DEP_1)
	v_clz_i32_u32_e32 v162, v161
	v_min_u32_e32 v162, 32, v162
	s_delay_alu instid0(VALU_DEP_1) | instskip(SKIP_1) | instid1(VALU_DEP_2)
	v_subrev_nc_u32_e32 v163, 29, v162
	v_sub_nc_u32_e32 v162, 30, v162
	v_lshlrev_b32_e32 v20, v163, v20
	v_bfe_u32 v163, v21, 26, 5
	v_and_b32_e32 v21, 0x80000000, v21
	s_delay_alu instid0(VALU_DEP_3) | instskip(NEXT) | instid1(VALU_DEP_3)
	v_and_b32_e32 v20, 3, v20
	v_cmp_eq_u32_e32 vcc_lo, 0, v163
	v_cndmask_b32_e32 v162, v163, v162, vcc_lo
	s_delay_alu instid0(VALU_DEP_3) | instskip(NEXT) | instid1(VALU_DEP_2)
	v_cndmask_b32_e32 v20, v161, v20, vcc_lo
	v_lshl_add_u32 v161, v162, 23, 0x37800000
	s_delay_alu instid0(VALU_DEP_2) | instskip(NEXT) | instid1(VALU_DEP_1)
	v_lshlrev_b32_e32 v20, 21, v20
	v_or3_b32 v161, v21, v161, v20
.LBB4_349:                              ;   in Loop: Header=BB4_130 Depth=3
	s_or_b32 exec_lo, exec_lo, s21
	s_mov_b32 s10, 0
	s_mov_b32 s22, exec_lo
                                        ; implicit-def: $sgpr21
	v_cmpx_lt_i16_e64 0x7f, v160
	s_xor_b32 s22, exec_lo, s22
	s_cbranch_execnz .LBB4_486
; %bb.350:                              ;   in Loop: Header=BB4_130 Depth=3
	s_or_saveexec_b32 s22, s22
	v_mov_b32_e32 v20, s21
	s_xor_b32 exec_lo, exec_lo, s22
	s_cbranch_execnz .LBB4_489
.LBB4_351:                              ;   in Loop: Header=BB4_130 Depth=3
	s_or_b32 exec_lo, exec_lo, s22
	s_and_saveexec_b32 s21, s10
	s_cbranch_execz .LBB4_353
.LBB4_352:                              ;   in Loop: Header=BB4_130 Depth=3
	v_bfe_u32 v20, v97, 24, 2
	s_delay_alu instid0(VALU_DEP_1) | instskip(NEXT) | instid1(VALU_DEP_1)
	v_clz_i32_u32_e32 v21, v20
	v_min_u32_e32 v21, 32, v21
	s_delay_alu instid0(VALU_DEP_1) | instskip(SKIP_1) | instid1(VALU_DEP_2)
	v_subrev_nc_u32_e32 v162, 29, v21
	v_sub_nc_u32_e32 v21, 30, v21
	v_lshlrev_b32_e32 v160, v162, v160
	v_bfe_u32 v162, v97, 26, 5
	v_and_b32_e32 v97, 0x80000000, v97
	s_delay_alu instid0(VALU_DEP_2) | instskip(NEXT) | instid1(VALU_DEP_4)
	v_cmp_eq_u32_e32 vcc_lo, 0, v162
	v_dual_cndmask_b32 v21, v162, v21 :: v_dual_and_b32 v160, 3, v160
	s_delay_alu instid0(VALU_DEP_1) | instskip(NEXT) | instid1(VALU_DEP_2)
	v_cndmask_b32_e32 v20, v20, v160, vcc_lo
	v_lshl_add_u32 v21, v21, 23, 0x37800000
	s_delay_alu instid0(VALU_DEP_2) | instskip(NEXT) | instid1(VALU_DEP_1)
	v_lshlrev_b32_e32 v20, 21, v20
	v_or3_b32 v20, v97, v21, v20
.LBB4_353:                              ;   in Loop: Header=BB4_130 Depth=3
	s_or_b32 exec_lo, exec_lo, s21
	s_delay_alu instid0(VALU_DEP_1) | instskip(NEXT) | instid1(VALU_DEP_1)
	v_dual_max_f32 v20, v20, v20 :: v_dual_max_f32 v21, v161, v161
                                        ; implicit-def: $vgpr97
                                        ; implicit-def: $vgpr160
	v_max_f32_e32 v161, v21, v20
                                        ; implicit-def: $vgpr20_vgpr21
                                        ; implicit-def: $vgpr20
.LBB4_354:                              ;   in Loop: Header=BB4_130 Depth=3
	s_and_not1_saveexec_b32 s9, s9
	s_cbranch_execz .LBB4_364
; %bb.355:                              ;   in Loop: Header=BB4_130 Depth=3
	s_mov_b32 s10, 0
	s_mov_b32 s22, exec_lo
                                        ; implicit-def: $sgpr21
	v_cmpx_lt_i16_e32 0x7f, v20
	s_xor_b32 s22, exec_lo, s22
	s_cbranch_execnz .LBB4_490
; %bb.356:                              ;   in Loop: Header=BB4_130 Depth=3
	s_or_saveexec_b32 s22, s22
	v_mov_b32_e32 v161, s21
	s_xor_b32 exec_lo, exec_lo, s22
	s_cbranch_execnz .LBB4_493
.LBB4_357:                              ;   in Loop: Header=BB4_130 Depth=3
	s_or_b32 exec_lo, exec_lo, s22
	s_and_saveexec_b32 s21, s10
	s_cbranch_execz .LBB4_359
.LBB4_358:                              ;   in Loop: Header=BB4_130 Depth=3
	v_bfe_u32 v161, v21, 24, 2
	s_delay_alu instid0(VALU_DEP_1) | instskip(NEXT) | instid1(VALU_DEP_1)
	v_clz_i32_u32_e32 v162, v161
	v_min_u32_e32 v162, 32, v162
	s_delay_alu instid0(VALU_DEP_1) | instskip(SKIP_1) | instid1(VALU_DEP_2)
	v_subrev_nc_u32_e32 v163, 29, v162
	v_sub_nc_u32_e32 v162, 30, v162
	v_lshlrev_b32_e32 v20, v163, v20
	v_bfe_u32 v163, v21, 26, 5
	v_and_b32_e32 v21, 0x80000000, v21
	s_delay_alu instid0(VALU_DEP_3) | instskip(NEXT) | instid1(VALU_DEP_3)
	v_and_b32_e32 v20, 3, v20
	v_cmp_eq_u32_e32 vcc_lo, 0, v163
	v_cndmask_b32_e32 v162, v163, v162, vcc_lo
	s_delay_alu instid0(VALU_DEP_3) | instskip(NEXT) | instid1(VALU_DEP_2)
	v_cndmask_b32_e32 v20, v161, v20, vcc_lo
	v_lshl_add_u32 v161, v162, 23, 0x37800000
	s_delay_alu instid0(VALU_DEP_2) | instskip(NEXT) | instid1(VALU_DEP_1)
	v_lshlrev_b32_e32 v20, 21, v20
	v_or3_b32 v161, v21, v161, v20
.LBB4_359:                              ;   in Loop: Header=BB4_130 Depth=3
	s_or_b32 exec_lo, exec_lo, s21
	s_mov_b32 s10, 0
	s_mov_b32 s22, exec_lo
                                        ; implicit-def: $sgpr21
	v_cmpx_lt_i16_e64 0x7f, v160
	s_xor_b32 s22, exec_lo, s22
	s_cbranch_execnz .LBB4_494
; %bb.360:                              ;   in Loop: Header=BB4_130 Depth=3
	s_or_saveexec_b32 s22, s22
	v_mov_b32_e32 v20, s21
	s_xor_b32 exec_lo, exec_lo, s22
	s_cbranch_execnz .LBB4_497
.LBB4_361:                              ;   in Loop: Header=BB4_130 Depth=3
	s_or_b32 exec_lo, exec_lo, s22
	s_and_saveexec_b32 s21, s10
	s_cbranch_execz .LBB4_363
.LBB4_362:                              ;   in Loop: Header=BB4_130 Depth=3
	v_bfe_u32 v20, v97, 24, 2
	s_delay_alu instid0(VALU_DEP_1) | instskip(NEXT) | instid1(VALU_DEP_1)
	v_clz_i32_u32_e32 v21, v20
	v_min_u32_e32 v21, 32, v21
	s_delay_alu instid0(VALU_DEP_1) | instskip(SKIP_1) | instid1(VALU_DEP_2)
	v_subrev_nc_u32_e32 v162, 29, v21
	v_sub_nc_u32_e32 v21, 30, v21
	v_lshlrev_b32_e32 v160, v162, v160
	v_bfe_u32 v162, v97, 26, 5
	v_and_b32_e32 v97, 0x80000000, v97
	s_delay_alu instid0(VALU_DEP_2) | instskip(NEXT) | instid1(VALU_DEP_4)
	v_cmp_eq_u32_e32 vcc_lo, 0, v162
	v_dual_cndmask_b32 v21, v162, v21 :: v_dual_and_b32 v160, 3, v160
	s_delay_alu instid0(VALU_DEP_1) | instskip(NEXT) | instid1(VALU_DEP_2)
	v_cndmask_b32_e32 v20, v20, v160, vcc_lo
	v_lshl_add_u32 v21, v21, 23, 0x37800000
	s_delay_alu instid0(VALU_DEP_2) | instskip(NEXT) | instid1(VALU_DEP_1)
	v_lshlrev_b32_e32 v20, 21, v20
	v_or3_b32 v20, v97, v21, v20
.LBB4_363:                              ;   in Loop: Header=BB4_130 Depth=3
	s_or_b32 exec_lo, exec_lo, s21
	s_delay_alu instid0(VALU_DEP_1) | instskip(NEXT) | instid1(VALU_DEP_1)
	v_dual_max_f32 v20, v20, v20 :: v_dual_max_f32 v21, v161, v161
	v_min_f32_e32 v161, v21, v20
.LBB4_364:                              ;   in Loop: Header=BB4_130 Depth=3
	s_or_b32 exec_lo, exec_lo, s9
	s_delay_alu instid0(VALU_DEP_1) | instskip(NEXT) | instid1(VALU_DEP_1)
	v_and_b32_e32 v20, 0x7f800000, v161
	v_cmp_ne_u32_e32 vcc_lo, 0x7f800000, v20
	v_mov_b32_e32 v20, 0x8000
	s_and_saveexec_b32 s10, vcc_lo
	s_cbranch_execz .LBB4_129
; %bb.365:                              ;   in Loop: Header=BB4_130 Depth=3
	v_mov_b32_e32 v20, 0
	s_mov_b32 s21, exec_lo
	v_cmpx_ne_u32_e32 0, v161
	s_cbranch_execz .LBB4_128
; %bb.366:                              ;   in Loop: Header=BB4_130 Depth=3
	v_bfe_u32 v20, v161, 23, 8
	v_and_b32_e32 v21, 0x7fffff, v161
	s_delay_alu instid0(VALU_DEP_2) | instskip(SKIP_1) | instid1(VALU_DEP_3)
	v_sub_nc_u32_e32 v97, 0x70, v20
	v_cmp_gt_u32_e32 vcc_lo, 0x71, v20
	v_or_b32_e32 v160, 0x800000, v21
	s_delay_alu instid0(VALU_DEP_3) | instskip(SKIP_2) | instid1(VALU_DEP_3)
	v_cndmask_b32_e32 v97, 0, v97, vcc_lo
	v_cmp_eq_u32_e32 vcc_lo, 0, v20
	v_add_nc_u32_e32 v20, 0xffffff91, v20
	v_cndmask_b32_e64 v97, v97, 0x6f, vcc_lo
	v_cndmask_b32_e32 v21, v160, v21, vcc_lo
	s_delay_alu instid0(VALU_DEP_3) | instskip(NEXT) | instid1(VALU_DEP_3)
	v_cndmask_b32_e64 v20, v20, 0xffffff92, vcc_lo
	v_lshl_add_u32 v160, 0x200000, v97, -1
	s_delay_alu instid0(VALU_DEP_3) | instskip(SKIP_1) | instid1(VALU_DEP_4)
	v_lshrrev_b32_e32 v162, v97, v21
	v_lshlrev_b32_e64 v164, v97, 0x100000
	v_add_nc_u32_e32 v97, v97, v20
	s_delay_alu instid0(VALU_DEP_4) | instskip(NEXT) | instid1(VALU_DEP_4)
	v_and_b32_e32 v21, v160, v21
	v_bfe_u32 v163, v162, 21, 1
	s_delay_alu instid0(VALU_DEP_2) | instskip(NEXT) | instid1(VALU_DEP_2)
	v_cmp_eq_u32_e64 s9, v21, v164
	v_add_nc_u32_e32 v160, -1, v163
	s_delay_alu instid0(VALU_DEP_1) | instskip(SKIP_2) | instid1(VALU_DEP_2)
	v_cndmask_b32_e64 v21, 0, v160, s9
	v_lshrrev_b32_e32 v160, 23, v162
	s_mov_b32 s9, exec_lo
	v_add_nc_u32_e32 v21, v21, v162
	s_delay_alu instid0(VALU_DEP_2) | instskip(NEXT) | instid1(VALU_DEP_2)
	v_xor_b32_e32 v160, 1, v160
	v_and_b32_e32 v20, 0x1fffff, v21
	s_delay_alu instid0(VALU_DEP_1) | instskip(NEXT) | instid1(VALU_DEP_3)
	v_add_nc_u32_e32 v21, v20, v162
                                        ; implicit-def: $vgpr20
	v_cmpx_ne_u32_e64 v97, v160
	s_xor_b32 s9, exec_lo, s9
; %bb.367:                              ;   in Loop: Header=BB4_130 Depth=3
	s_delay_alu instid0(VALU_DEP_2) | instskip(SKIP_2) | instid1(VALU_DEP_2)
	v_cmp_lt_u32_e32 vcc_lo, 0xffffff, v21
	v_sub_nc_u32_e32 v20, v97, v160
	v_cndmask_b32_e64 v97, 0, 1, vcc_lo
	v_add_co_ci_u32_e32 v20, vcc_lo, 0, v20, vcc_lo
	s_delay_alu instid0(VALU_DEP_2)
	v_lshrrev_b32_e32 v21, v97, v21
; %bb.368:                              ;   in Loop: Header=BB4_130 Depth=3
	s_and_not1_saveexec_b32 s9, s9
	s_cbranch_execz .LBB4_127
; %bb.369:                              ;   in Loop: Header=BB4_130 Depth=3
	s_delay_alu instid0(VALU_DEP_1)
	v_bfe_u32 v20, v21, 23, 1
	s_branch .LBB4_127
.LBB4_370:                              ;   in Loop: Header=BB4_130 Depth=3
	s_mov_b32 s10, -1
	s_mov_b32 s23, exec_lo
                                        ; implicit-def: $sgpr21
	v_cmpx_eq_u16_e32 0x80, v22
; %bb.371:                              ;   in Loop: Header=BB4_130 Depth=3
	s_mov_b32 s21, 0x7f800001
	s_xor_b32 s10, exec_lo, -1
; %bb.372:                              ;   in Loop: Header=BB4_130 Depth=3
	s_or_b32 exec_lo, exec_lo, s23
	s_delay_alu instid0(SALU_CYCLE_1)
	s_and_b32 s10, s10, exec_lo
                                        ; implicit-def: $vgpr22
	s_or_saveexec_b32 s22, s22
	v_mov_b32_e32 v17, s21
	s_xor_b32 exec_lo, exec_lo, s22
	s_cbranch_execz .LBB4_151
.LBB4_373:                              ;   in Loop: Header=BB4_130 Depth=3
	v_cmp_ne_u16_e32 vcc_lo, 0, v22
	v_mov_b32_e32 v17, 0
	s_and_not1_b32 s10, s10, exec_lo
	s_and_b32 s21, vcc_lo, exec_lo
	s_delay_alu instid0(SALU_CYCLE_1)
	s_or_b32 s10, s10, s21
	s_or_b32 exec_lo, exec_lo, s22
	s_and_saveexec_b32 s21, s10
	s_cbranch_execnz .LBB4_152
	s_branch .LBB4_153
.LBB4_374:                              ;   in Loop: Header=BB4_130 Depth=3
	s_mov_b32 s10, -1
	s_mov_b32 s23, exec_lo
                                        ; implicit-def: $sgpr21
	v_cmpx_eq_u16_e32 0x80, v83
; %bb.375:                              ;   in Loop: Header=BB4_130 Depth=3
	s_mov_b32 s21, 0x7f800001
	s_xor_b32 s10, exec_lo, -1
; %bb.376:                              ;   in Loop: Header=BB4_130 Depth=3
	s_or_b32 exec_lo, exec_lo, s23
	s_delay_alu instid0(SALU_CYCLE_1)
	s_and_b32 s10, s10, exec_lo
                                        ; implicit-def: $vgpr83
	s_or_saveexec_b32 s22, s22
	v_mov_b32_e32 v22, s21
	s_xor_b32 exec_lo, exec_lo, s22
	s_cbranch_execz .LBB4_155
.LBB4_377:                              ;   in Loop: Header=BB4_130 Depth=3
	v_cmp_ne_u16_e32 vcc_lo, 0, v83
	v_mov_b32_e32 v22, 0
	s_and_not1_b32 s10, s10, exec_lo
	s_and_b32 s21, vcc_lo, exec_lo
	s_delay_alu instid0(SALU_CYCLE_1)
	s_or_b32 s10, s10, s21
	s_or_b32 exec_lo, exec_lo, s22
	s_and_saveexec_b32 s21, s10
	s_cbranch_execnz .LBB4_156
	s_branch .LBB4_157
.LBB4_378:                              ;   in Loop: Header=BB4_130 Depth=3
	s_mov_b32 s10, -1
	s_mov_b32 s23, exec_lo
                                        ; implicit-def: $sgpr21
	v_cmpx_eq_u16_e32 0x80, v22
; %bb.379:                              ;   in Loop: Header=BB4_130 Depth=3
	s_mov_b32 s21, 0x7f800001
	s_xor_b32 s10, exec_lo, -1
; %bb.380:                              ;   in Loop: Header=BB4_130 Depth=3
	s_or_b32 exec_lo, exec_lo, s23
	s_delay_alu instid0(SALU_CYCLE_1)
	s_and_b32 s10, s10, exec_lo
                                        ; implicit-def: $vgpr22
	s_or_saveexec_b32 s22, s22
	v_mov_b32_e32 v17, s21
	s_xor_b32 exec_lo, exec_lo, s22
	s_cbranch_execz .LBB4_161
.LBB4_381:                              ;   in Loop: Header=BB4_130 Depth=3
	v_cmp_ne_u16_e32 vcc_lo, 0, v22
	v_mov_b32_e32 v17, 0
	s_and_not1_b32 s10, s10, exec_lo
	s_and_b32 s21, vcc_lo, exec_lo
	s_delay_alu instid0(SALU_CYCLE_1)
	s_or_b32 s10, s10, s21
	s_or_b32 exec_lo, exec_lo, s22
	s_and_saveexec_b32 s21, s10
	s_cbranch_execnz .LBB4_162
	s_branch .LBB4_163
.LBB4_382:                              ;   in Loop: Header=BB4_130 Depth=3
	s_mov_b32 s10, -1
	s_mov_b32 s23, exec_lo
                                        ; implicit-def: $sgpr21
	v_cmpx_eq_u16_e32 0x80, v83
; %bb.383:                              ;   in Loop: Header=BB4_130 Depth=3
	s_mov_b32 s21, 0x7f800001
	s_xor_b32 s10, exec_lo, -1
; %bb.384:                              ;   in Loop: Header=BB4_130 Depth=3
	s_or_b32 exec_lo, exec_lo, s23
	s_delay_alu instid0(SALU_CYCLE_1)
	s_and_b32 s10, s10, exec_lo
                                        ; implicit-def: $vgpr83
	s_or_saveexec_b32 s22, s22
	v_mov_b32_e32 v22, s21
	s_xor_b32 exec_lo, exec_lo, s22
	s_cbranch_execz .LBB4_165
.LBB4_385:                              ;   in Loop: Header=BB4_130 Depth=3
	v_cmp_ne_u16_e32 vcc_lo, 0, v83
	v_mov_b32_e32 v22, 0
	s_and_not1_b32 s10, s10, exec_lo
	s_and_b32 s21, vcc_lo, exec_lo
	s_delay_alu instid0(SALU_CYCLE_1)
	s_or_b32 s10, s10, s21
	s_or_b32 exec_lo, exec_lo, s22
	s_and_saveexec_b32 s21, s10
	s_cbranch_execnz .LBB4_166
	s_branch .LBB4_167
.LBB4_386:                              ;   in Loop: Header=BB4_130 Depth=3
	s_mov_b32 s10, -1
	s_mov_b32 s23, exec_lo
                                        ; implicit-def: $sgpr21
	v_cmpx_eq_u16_e32 0x80, v83
; %bb.387:                              ;   in Loop: Header=BB4_130 Depth=3
	s_mov_b32 s21, 0x7f800001
	s_xor_b32 s10, exec_lo, -1
; %bb.388:                              ;   in Loop: Header=BB4_130 Depth=3
	s_or_b32 exec_lo, exec_lo, s23
	s_delay_alu instid0(SALU_CYCLE_1)
	s_and_b32 s10, s10, exec_lo
	s_or_saveexec_b32 s22, s22
	v_mov_b32_e32 v97, s21
	s_xor_b32 exec_lo, exec_lo, s22
	s_cbranch_execz .LBB4_179
.LBB4_389:                              ;   in Loop: Header=BB4_130 Depth=3
	v_cmp_ne_u16_e32 vcc_lo, 0, v83
	v_mov_b32_e32 v97, 0
	s_and_not1_b32 s10, s10, exec_lo
	s_and_b32 s21, vcc_lo, exec_lo
	s_delay_alu instid0(SALU_CYCLE_1)
	s_or_b32 s10, s10, s21
	s_or_b32 exec_lo, exec_lo, s22
	s_and_saveexec_b32 s21, s10
	s_cbranch_execnz .LBB4_180
	s_branch .LBB4_181
.LBB4_390:                              ;   in Loop: Header=BB4_130 Depth=3
	s_mov_b32 s10, -1
	s_mov_b32 s23, exec_lo
                                        ; implicit-def: $sgpr21
	v_cmpx_eq_u16_e32 0x80, v22
; %bb.391:                              ;   in Loop: Header=BB4_130 Depth=3
	s_mov_b32 s21, 0x7f800001
	s_xor_b32 s10, exec_lo, -1
; %bb.392:                              ;   in Loop: Header=BB4_130 Depth=3
	s_or_b32 exec_lo, exec_lo, s23
	s_delay_alu instid0(SALU_CYCLE_1)
	s_and_b32 s10, s10, exec_lo
	s_or_saveexec_b32 s22, s22
	v_mov_b32_e32 v83, s21
	s_xor_b32 exec_lo, exec_lo, s22
	s_cbranch_execz .LBB4_183
.LBB4_393:                              ;   in Loop: Header=BB4_130 Depth=3
	v_cmp_ne_u16_e32 vcc_lo, 0, v22
	v_mov_b32_e32 v83, 0
	s_and_not1_b32 s10, s10, exec_lo
	s_and_b32 s21, vcc_lo, exec_lo
	s_delay_alu instid0(SALU_CYCLE_1)
	s_or_b32 s10, s10, s21
	s_or_b32 exec_lo, exec_lo, s22
	s_and_saveexec_b32 s21, s10
	s_cbranch_execnz .LBB4_184
	s_branch .LBB4_185
.LBB4_394:                              ;   in Loop: Header=BB4_130 Depth=3
	s_mov_b32 s10, -1
	s_mov_b32 s23, exec_lo
                                        ; implicit-def: $sgpr21
	v_cmpx_eq_u16_e32 0x80, v83
; %bb.395:                              ;   in Loop: Header=BB4_130 Depth=3
	s_mov_b32 s21, 0x7f800001
	s_xor_b32 s10, exec_lo, -1
; %bb.396:                              ;   in Loop: Header=BB4_130 Depth=3
	s_or_b32 exec_lo, exec_lo, s23
	s_delay_alu instid0(SALU_CYCLE_1)
	s_and_b32 s10, s10, exec_lo
	s_or_saveexec_b32 s22, s22
	v_mov_b32_e32 v97, s21
	s_xor_b32 exec_lo, exec_lo, s22
	s_cbranch_execz .LBB4_189
.LBB4_397:                              ;   in Loop: Header=BB4_130 Depth=3
	v_cmp_ne_u16_e32 vcc_lo, 0, v83
	v_mov_b32_e32 v97, 0
	s_and_not1_b32 s10, s10, exec_lo
	s_and_b32 s21, vcc_lo, exec_lo
	s_delay_alu instid0(SALU_CYCLE_1)
	s_or_b32 s10, s10, s21
	s_or_b32 exec_lo, exec_lo, s22
	s_and_saveexec_b32 s21, s10
	s_cbranch_execnz .LBB4_190
	s_branch .LBB4_191
.LBB4_398:                              ;   in Loop: Header=BB4_130 Depth=3
	s_mov_b32 s10, -1
	s_mov_b32 s23, exec_lo
                                        ; implicit-def: $sgpr21
	v_cmpx_eq_u16_e32 0x80, v22
; %bb.399:                              ;   in Loop: Header=BB4_130 Depth=3
	s_mov_b32 s21, 0x7f800001
	s_xor_b32 s10, exec_lo, -1
; %bb.400:                              ;   in Loop: Header=BB4_130 Depth=3
	s_or_b32 exec_lo, exec_lo, s23
	s_delay_alu instid0(SALU_CYCLE_1)
	s_and_b32 s10, s10, exec_lo
	s_or_saveexec_b32 s22, s22
	v_mov_b32_e32 v83, s21
	s_xor_b32 exec_lo, exec_lo, s22
	s_cbranch_execz .LBB4_193
.LBB4_401:                              ;   in Loop: Header=BB4_130 Depth=3
	v_cmp_ne_u16_e32 vcc_lo, 0, v22
	v_mov_b32_e32 v83, 0
	s_and_not1_b32 s10, s10, exec_lo
	s_and_b32 s21, vcc_lo, exec_lo
	s_delay_alu instid0(SALU_CYCLE_1)
	s_or_b32 s10, s10, s21
	s_or_b32 exec_lo, exec_lo, s22
	s_and_saveexec_b32 s21, s10
	s_cbranch_execnz .LBB4_194
	s_branch .LBB4_195
.LBB4_402:                              ;   in Loop: Header=BB4_130 Depth=3
	s_mov_b32 s10, -1
	s_mov_b32 s23, exec_lo
                                        ; implicit-def: $sgpr21
	v_cmpx_eq_u16_e64 0x80, v161
; %bb.403:                              ;   in Loop: Header=BB4_130 Depth=3
	s_mov_b32 s21, 0x7f800001
	s_xor_b32 s10, exec_lo, -1
; %bb.404:                              ;   in Loop: Header=BB4_130 Depth=3
	s_or_b32 exec_lo, exec_lo, s23
	s_delay_alu instid0(SALU_CYCLE_1)
	s_and_b32 s10, s10, exec_lo
                                        ; implicit-def: $vgpr161
	s_or_saveexec_b32 s22, s22
	v_mov_b32_e32 v160, s21
	s_xor_b32 exec_lo, exec_lo, s22
	s_cbranch_execz .LBB4_207
.LBB4_405:                              ;   in Loop: Header=BB4_130 Depth=3
	v_cmp_ne_u16_e64 vcc_lo, 0, v161
	v_mov_b32_e32 v160, 0
	s_and_not1_b32 s10, s10, exec_lo
	s_delay_alu instid0(VALU_DEP_2) | instskip(NEXT) | instid1(SALU_CYCLE_1)
	s_and_b32 s21, vcc_lo, exec_lo
	s_or_b32 s10, s10, s21
	s_or_b32 exec_lo, exec_lo, s22
	s_and_saveexec_b32 s21, s10
	s_cbranch_execnz .LBB4_208
	s_branch .LBB4_209
.LBB4_406:                              ;   in Loop: Header=BB4_130 Depth=3
	s_mov_b32 s10, -1
	s_mov_b32 s23, exec_lo
                                        ; implicit-def: $sgpr21
	v_cmpx_eq_u16_e64 0x80, v161
; %bb.407:                              ;   in Loop: Header=BB4_130 Depth=3
	s_mov_b32 s21, 0x7f800001
	s_xor_b32 s10, exec_lo, -1
; %bb.408:                              ;   in Loop: Header=BB4_130 Depth=3
	s_or_b32 exec_lo, exec_lo, s23
	s_delay_alu instid0(SALU_CYCLE_1)
	s_and_b32 s10, s10, exec_lo
                                        ; implicit-def: $vgpr161
	s_or_saveexec_b32 s22, s22
	v_mov_b32_e32 v97, s21
	s_xor_b32 exec_lo, exec_lo, s22
	s_cbranch_execz .LBB4_211
.LBB4_409:                              ;   in Loop: Header=BB4_130 Depth=3
	v_cmp_ne_u16_e64 vcc_lo, 0, v161
	v_mov_b32_e32 v97, 0
	s_and_not1_b32 s10, s10, exec_lo
	s_delay_alu instid0(VALU_DEP_2) | instskip(NEXT) | instid1(SALU_CYCLE_1)
	s_and_b32 s21, vcc_lo, exec_lo
	s_or_b32 s10, s10, s21
	s_or_b32 exec_lo, exec_lo, s22
	s_and_saveexec_b32 s21, s10
	s_cbranch_execnz .LBB4_212
	s_branch .LBB4_213
.LBB4_410:                              ;   in Loop: Header=BB4_130 Depth=3
	s_mov_b32 s10, -1
	s_mov_b32 s23, exec_lo
                                        ; implicit-def: $sgpr21
	v_cmpx_eq_u16_e64 0x80, v161
; %bb.411:                              ;   in Loop: Header=BB4_130 Depth=3
	s_mov_b32 s21, 0x7f800001
	s_xor_b32 s10, exec_lo, -1
; %bb.412:                              ;   in Loop: Header=BB4_130 Depth=3
	s_or_b32 exec_lo, exec_lo, s23
	s_delay_alu instid0(SALU_CYCLE_1)
	s_and_b32 s10, s10, exec_lo
                                        ; implicit-def: $vgpr161
	s_or_saveexec_b32 s22, s22
	v_mov_b32_e32 v160, s21
	s_xor_b32 exec_lo, exec_lo, s22
	s_cbranch_execz .LBB4_217
.LBB4_413:                              ;   in Loop: Header=BB4_130 Depth=3
	v_cmp_ne_u16_e64 vcc_lo, 0, v161
	v_mov_b32_e32 v160, 0
	s_and_not1_b32 s10, s10, exec_lo
	s_delay_alu instid0(VALU_DEP_2) | instskip(NEXT) | instid1(SALU_CYCLE_1)
	s_and_b32 s21, vcc_lo, exec_lo
	s_or_b32 s10, s10, s21
	s_or_b32 exec_lo, exec_lo, s22
	s_and_saveexec_b32 s21, s10
	s_cbranch_execnz .LBB4_218
	s_branch .LBB4_219
.LBB4_414:                              ;   in Loop: Header=BB4_130 Depth=3
	s_mov_b32 s10, -1
	s_mov_b32 s23, exec_lo
                                        ; implicit-def: $sgpr21
	v_cmpx_eq_u16_e64 0x80, v161
; %bb.415:                              ;   in Loop: Header=BB4_130 Depth=3
	s_mov_b32 s21, 0x7f800001
	s_xor_b32 s10, exec_lo, -1
; %bb.416:                              ;   in Loop: Header=BB4_130 Depth=3
	s_or_b32 exec_lo, exec_lo, s23
	s_delay_alu instid0(SALU_CYCLE_1)
	s_and_b32 s10, s10, exec_lo
                                        ; implicit-def: $vgpr161
	s_or_saveexec_b32 s22, s22
	v_mov_b32_e32 v97, s21
	s_xor_b32 exec_lo, exec_lo, s22
	s_cbranch_execz .LBB4_221
.LBB4_417:                              ;   in Loop: Header=BB4_130 Depth=3
	v_cmp_ne_u16_e64 vcc_lo, 0, v161
	v_mov_b32_e32 v97, 0
	s_and_not1_b32 s10, s10, exec_lo
	s_delay_alu instid0(VALU_DEP_2) | instskip(NEXT) | instid1(SALU_CYCLE_1)
	s_and_b32 s21, vcc_lo, exec_lo
	s_or_b32 s10, s10, s21
	s_or_b32 exec_lo, exec_lo, s22
	s_and_saveexec_b32 s21, s10
	s_cbranch_execnz .LBB4_222
	s_branch .LBB4_223
.LBB4_418:                              ;   in Loop: Header=BB4_130 Depth=3
	s_mov_b32 s10, -1
	s_mov_b32 s23, exec_lo
                                        ; implicit-def: $sgpr21
	v_cmpx_eq_u16_e64 0x80, v160
; %bb.419:                              ;   in Loop: Header=BB4_130 Depth=3
	s_mov_b32 s21, 0x7f800001
	s_xor_b32 s10, exec_lo, -1
; %bb.420:                              ;   in Loop: Header=BB4_130 Depth=3
	s_or_b32 exec_lo, exec_lo, s23
	s_delay_alu instid0(SALU_CYCLE_1)
	s_and_b32 s10, s10, exec_lo
	s_or_saveexec_b32 s22, s22
	v_mov_b32_e32 v161, s21
	s_xor_b32 exec_lo, exec_lo, s22
	s_cbranch_execz .LBB4_235
.LBB4_421:                              ;   in Loop: Header=BB4_130 Depth=3
	v_cmp_ne_u16_e64 vcc_lo, 0, v160
	v_mov_b32_e32 v161, 0
	s_and_not1_b32 s10, s10, exec_lo
	s_delay_alu instid0(VALU_DEP_2) | instskip(NEXT) | instid1(SALU_CYCLE_1)
	s_and_b32 s21, vcc_lo, exec_lo
	s_or_b32 s10, s10, s21
	s_or_b32 exec_lo, exec_lo, s22
	s_and_saveexec_b32 s21, s10
	s_cbranch_execnz .LBB4_236
	s_branch .LBB4_237
.LBB4_422:                              ;   in Loop: Header=BB4_130 Depth=3
	s_mov_b32 s10, -1
	s_mov_b32 s23, exec_lo
                                        ; implicit-def: $sgpr21
	v_cmpx_eq_u16_e32 0x80, v97
; %bb.423:                              ;   in Loop: Header=BB4_130 Depth=3
	s_mov_b32 s21, 0x7f800001
	s_xor_b32 s10, exec_lo, -1
; %bb.424:                              ;   in Loop: Header=BB4_130 Depth=3
	s_or_b32 exec_lo, exec_lo, s23
	s_delay_alu instid0(SALU_CYCLE_1)
	s_and_b32 s10, s10, exec_lo
	s_or_saveexec_b32 s22, s22
	v_mov_b32_e32 v19, s21
	s_xor_b32 exec_lo, exec_lo, s22
	s_cbranch_execz .LBB4_239
.LBB4_425:                              ;   in Loop: Header=BB4_130 Depth=3
	v_cmp_ne_u16_e32 vcc_lo, 0, v97
	v_mov_b32_e32 v19, 0
	s_and_not1_b32 s10, s10, exec_lo
	s_and_b32 s21, vcc_lo, exec_lo
	s_delay_alu instid0(SALU_CYCLE_1)
	s_or_b32 s10, s10, s21
	s_or_b32 exec_lo, exec_lo, s22
	s_and_saveexec_b32 s21, s10
	s_cbranch_execnz .LBB4_240
	s_branch .LBB4_241
.LBB4_426:                              ;   in Loop: Header=BB4_130 Depth=3
	s_mov_b32 s10, -1
	s_mov_b32 s23, exec_lo
                                        ; implicit-def: $sgpr21
	v_cmpx_eq_u16_e64 0x80, v160
; %bb.427:                              ;   in Loop: Header=BB4_130 Depth=3
	s_mov_b32 s21, 0x7f800001
	s_xor_b32 s10, exec_lo, -1
; %bb.428:                              ;   in Loop: Header=BB4_130 Depth=3
	s_or_b32 exec_lo, exec_lo, s23
	s_delay_alu instid0(SALU_CYCLE_1)
	s_and_b32 s10, s10, exec_lo
	s_or_saveexec_b32 s22, s22
	v_mov_b32_e32 v161, s21
	s_xor_b32 exec_lo, exec_lo, s22
	s_cbranch_execz .LBB4_245
.LBB4_429:                              ;   in Loop: Header=BB4_130 Depth=3
	v_cmp_ne_u16_e64 vcc_lo, 0, v160
	v_mov_b32_e32 v161, 0
	s_and_not1_b32 s10, s10, exec_lo
	s_delay_alu instid0(VALU_DEP_2) | instskip(NEXT) | instid1(SALU_CYCLE_1)
	s_and_b32 s21, vcc_lo, exec_lo
	s_or_b32 s10, s10, s21
	s_or_b32 exec_lo, exec_lo, s22
	s_and_saveexec_b32 s21, s10
	s_cbranch_execnz .LBB4_246
	s_branch .LBB4_247
.LBB4_430:                              ;   in Loop: Header=BB4_130 Depth=3
	s_mov_b32 s10, -1
	s_mov_b32 s23, exec_lo
                                        ; implicit-def: $sgpr21
	v_cmpx_eq_u16_e32 0x80, v97
; %bb.431:                              ;   in Loop: Header=BB4_130 Depth=3
	s_mov_b32 s21, 0x7f800001
	s_xor_b32 s10, exec_lo, -1
; %bb.432:                              ;   in Loop: Header=BB4_130 Depth=3
	s_or_b32 exec_lo, exec_lo, s23
	s_delay_alu instid0(SALU_CYCLE_1)
	s_and_b32 s10, s10, exec_lo
	s_or_saveexec_b32 s22, s22
	v_mov_b32_e32 v19, s21
	s_xor_b32 exec_lo, exec_lo, s22
	s_cbranch_execz .LBB4_249
.LBB4_433:                              ;   in Loop: Header=BB4_130 Depth=3
	v_cmp_ne_u16_e32 vcc_lo, 0, v97
	v_mov_b32_e32 v19, 0
	s_and_not1_b32 s10, s10, exec_lo
	s_and_b32 s21, vcc_lo, exec_lo
	s_delay_alu instid0(SALU_CYCLE_1)
	s_or_b32 s10, s10, s21
	s_or_b32 exec_lo, exec_lo, s22
	s_and_saveexec_b32 s21, s10
	s_cbranch_execnz .LBB4_250
	s_branch .LBB4_251
.LBB4_434:                              ;   in Loop: Header=BB4_130 Depth=3
	s_mov_b32 s10, -1
	s_mov_b32 s23, exec_lo
                                        ; implicit-def: $sgpr21
	v_cmpx_eq_u16_e32 0x80, v20
; %bb.435:                              ;   in Loop: Header=BB4_130 Depth=3
	s_mov_b32 s21, 0x7f800001
	s_xor_b32 s10, exec_lo, -1
; %bb.436:                              ;   in Loop: Header=BB4_130 Depth=3
	s_or_b32 exec_lo, exec_lo, s23
	s_delay_alu instid0(SALU_CYCLE_1)
	s_and_b32 s10, s10, exec_lo
                                        ; implicit-def: $vgpr20
	s_or_saveexec_b32 s22, s22
	v_mov_b32_e32 v19, s21
	s_xor_b32 exec_lo, exec_lo, s22
	s_cbranch_execz .LBB4_263
.LBB4_437:                              ;   in Loop: Header=BB4_130 Depth=3
	v_cmp_ne_u16_e32 vcc_lo, 0, v20
	v_mov_b32_e32 v19, 0
	s_and_not1_b32 s10, s10, exec_lo
	s_and_b32 s21, vcc_lo, exec_lo
	s_delay_alu instid0(SALU_CYCLE_1)
	s_or_b32 s10, s10, s21
	s_or_b32 exec_lo, exec_lo, s22
	s_and_saveexec_b32 s21, s10
	s_cbranch_execnz .LBB4_264
	s_branch .LBB4_265
.LBB4_438:                              ;   in Loop: Header=BB4_130 Depth=3
	s_mov_b32 s10, -1
	s_mov_b32 s23, exec_lo
                                        ; implicit-def: $sgpr21
	v_cmpx_eq_u16_e64 0x80, v150
; %bb.439:                              ;   in Loop: Header=BB4_130 Depth=3
	s_mov_b32 s21, 0x7f800001
	s_xor_b32 s10, exec_lo, -1
; %bb.440:                              ;   in Loop: Header=BB4_130 Depth=3
	s_or_b32 exec_lo, exec_lo, s23
	s_delay_alu instid0(SALU_CYCLE_1)
	s_and_b32 s10, s10, exec_lo
                                        ; implicit-def: $vgpr150
	s_or_saveexec_b32 s22, s22
	v_mov_b32_e32 v20, s21
	s_xor_b32 exec_lo, exec_lo, s22
	s_cbranch_execz .LBB4_267
.LBB4_441:                              ;   in Loop: Header=BB4_130 Depth=3
	v_cmp_ne_u16_e64 vcc_lo, 0, v150
	v_mov_b32_e32 v20, 0
	s_and_not1_b32 s10, s10, exec_lo
	s_delay_alu instid0(VALU_DEP_2) | instskip(NEXT) | instid1(SALU_CYCLE_1)
	s_and_b32 s21, vcc_lo, exec_lo
	s_or_b32 s10, s10, s21
	s_or_b32 exec_lo, exec_lo, s22
	s_and_saveexec_b32 s21, s10
	s_cbranch_execnz .LBB4_268
	s_branch .LBB4_269
.LBB4_442:                              ;   in Loop: Header=BB4_130 Depth=3
	s_mov_b32 s10, -1
	s_mov_b32 s23, exec_lo
                                        ; implicit-def: $sgpr21
	v_cmpx_eq_u16_e32 0x80, v20
; %bb.443:                              ;   in Loop: Header=BB4_130 Depth=3
	s_mov_b32 s21, 0x7f800001
	s_xor_b32 s10, exec_lo, -1
; %bb.444:                              ;   in Loop: Header=BB4_130 Depth=3
	s_or_b32 exec_lo, exec_lo, s23
	s_delay_alu instid0(SALU_CYCLE_1)
	s_and_b32 s10, s10, exec_lo
                                        ; implicit-def: $vgpr20
	s_or_saveexec_b32 s22, s22
	v_mov_b32_e32 v19, s21
	s_xor_b32 exec_lo, exec_lo, s22
	s_cbranch_execz .LBB4_273
.LBB4_445:                              ;   in Loop: Header=BB4_130 Depth=3
	v_cmp_ne_u16_e32 vcc_lo, 0, v20
	v_mov_b32_e32 v19, 0
	s_and_not1_b32 s10, s10, exec_lo
	s_and_b32 s21, vcc_lo, exec_lo
	s_delay_alu instid0(SALU_CYCLE_1)
	s_or_b32 s10, s10, s21
	s_or_b32 exec_lo, exec_lo, s22
	s_and_saveexec_b32 s21, s10
	s_cbranch_execnz .LBB4_274
	s_branch .LBB4_275
.LBB4_446:                              ;   in Loop: Header=BB4_130 Depth=3
	s_mov_b32 s10, -1
	s_mov_b32 s23, exec_lo
                                        ; implicit-def: $sgpr21
	v_cmpx_eq_u16_e64 0x80, v150
; %bb.447:                              ;   in Loop: Header=BB4_130 Depth=3
	s_mov_b32 s21, 0x7f800001
	s_xor_b32 s10, exec_lo, -1
; %bb.448:                              ;   in Loop: Header=BB4_130 Depth=3
	s_or_b32 exec_lo, exec_lo, s23
	s_delay_alu instid0(SALU_CYCLE_1)
	s_and_b32 s10, s10, exec_lo
                                        ; implicit-def: $vgpr150
	s_or_saveexec_b32 s22, s22
	v_mov_b32_e32 v20, s21
	s_xor_b32 exec_lo, exec_lo, s22
	s_cbranch_execz .LBB4_277
.LBB4_449:                              ;   in Loop: Header=BB4_130 Depth=3
	v_cmp_ne_u16_e64 vcc_lo, 0, v150
	v_mov_b32_e32 v20, 0
	s_and_not1_b32 s10, s10, exec_lo
	s_delay_alu instid0(VALU_DEP_2) | instskip(NEXT) | instid1(SALU_CYCLE_1)
	s_and_b32 s21, vcc_lo, exec_lo
	s_or_b32 s10, s10, s21
	s_or_b32 exec_lo, exec_lo, s22
	s_and_saveexec_b32 s21, s10
	s_cbranch_execnz .LBB4_278
	s_branch .LBB4_279
.LBB4_450:                              ;   in Loop: Header=BB4_130 Depth=3
	s_mov_b32 s10, -1
	s_mov_b32 s23, exec_lo
                                        ; implicit-def: $sgpr21
	v_cmpx_eq_u16_e64 0x80, v160
; %bb.451:                              ;   in Loop: Header=BB4_130 Depth=3
	s_mov_b32 s21, 0x7f800001
	s_xor_b32 s10, exec_lo, -1
; %bb.452:                              ;   in Loop: Header=BB4_130 Depth=3
	s_or_b32 exec_lo, exec_lo, s23
	s_delay_alu instid0(SALU_CYCLE_1)
	s_and_b32 s10, s10, exec_lo
	s_or_saveexec_b32 s22, s22
	v_mov_b32_e32 v20, s21
	s_xor_b32 exec_lo, exec_lo, s22
	s_cbranch_execz .LBB4_291
.LBB4_453:                              ;   in Loop: Header=BB4_130 Depth=3
	v_cmp_ne_u16_e64 vcc_lo, 0, v160
	v_mov_b32_e32 v20, 0
	s_and_not1_b32 s10, s10, exec_lo
	s_delay_alu instid0(VALU_DEP_2) | instskip(NEXT) | instid1(SALU_CYCLE_1)
	s_and_b32 s21, vcc_lo, exec_lo
	s_or_b32 s10, s10, s21
	s_or_b32 exec_lo, exec_lo, s22
	s_and_saveexec_b32 s21, s10
	s_cbranch_execnz .LBB4_292
	s_branch .LBB4_293
.LBB4_454:                              ;   in Loop: Header=BB4_130 Depth=3
	s_mov_b32 s10, -1
	s_mov_b32 s23, exec_lo
                                        ; implicit-def: $sgpr21
	v_cmpx_eq_u16_e64 0x80, v151
; %bb.455:                              ;   in Loop: Header=BB4_130 Depth=3
	s_mov_b32 s21, 0x7f800001
	s_xor_b32 s10, exec_lo, -1
; %bb.456:                              ;   in Loop: Header=BB4_130 Depth=3
	s_or_b32 exec_lo, exec_lo, s23
	s_delay_alu instid0(SALU_CYCLE_1)
	s_and_b32 s10, s10, exec_lo
	s_or_saveexec_b32 s22, s22
	v_mov_b32_e32 v19, s21
	s_xor_b32 exec_lo, exec_lo, s22
	s_cbranch_execz .LBB4_295
.LBB4_457:                              ;   in Loop: Header=BB4_130 Depth=3
	v_cmp_ne_u16_e64 vcc_lo, 0, v151
	v_mov_b32_e32 v19, 0
	s_and_not1_b32 s10, s10, exec_lo
	s_delay_alu instid0(VALU_DEP_2) | instskip(NEXT) | instid1(SALU_CYCLE_1)
	s_and_b32 s21, vcc_lo, exec_lo
	s_or_b32 s10, s10, s21
	s_or_b32 exec_lo, exec_lo, s22
	s_and_saveexec_b32 s21, s10
	s_cbranch_execnz .LBB4_296
	s_branch .LBB4_297
.LBB4_458:                              ;   in Loop: Header=BB4_130 Depth=3
	s_mov_b32 s10, -1
	s_mov_b32 s23, exec_lo
                                        ; implicit-def: $sgpr21
	v_cmpx_eq_u16_e64 0x80, v160
; %bb.459:                              ;   in Loop: Header=BB4_130 Depth=3
	s_mov_b32 s21, 0x7f800001
	s_xor_b32 s10, exec_lo, -1
; %bb.460:                              ;   in Loop: Header=BB4_130 Depth=3
	s_or_b32 exec_lo, exec_lo, s23
	s_delay_alu instid0(SALU_CYCLE_1)
	s_and_b32 s10, s10, exec_lo
	s_or_saveexec_b32 s22, s22
	v_mov_b32_e32 v20, s21
	s_xor_b32 exec_lo, exec_lo, s22
	s_cbranch_execz .LBB4_301
.LBB4_461:                              ;   in Loop: Header=BB4_130 Depth=3
	v_cmp_ne_u16_e64 vcc_lo, 0, v160
	v_mov_b32_e32 v20, 0
	s_and_not1_b32 s10, s10, exec_lo
	s_delay_alu instid0(VALU_DEP_2) | instskip(NEXT) | instid1(SALU_CYCLE_1)
	s_and_b32 s21, vcc_lo, exec_lo
	s_or_b32 s10, s10, s21
	s_or_b32 exec_lo, exec_lo, s22
	s_and_saveexec_b32 s21, s10
	s_cbranch_execnz .LBB4_302
	s_branch .LBB4_303
.LBB4_462:                              ;   in Loop: Header=BB4_130 Depth=3
	s_mov_b32 s10, -1
	s_mov_b32 s23, exec_lo
                                        ; implicit-def: $sgpr21
	v_cmpx_eq_u16_e64 0x80, v151
; %bb.463:                              ;   in Loop: Header=BB4_130 Depth=3
	s_mov_b32 s21, 0x7f800001
	s_xor_b32 s10, exec_lo, -1
; %bb.464:                              ;   in Loop: Header=BB4_130 Depth=3
	s_or_b32 exec_lo, exec_lo, s23
	s_delay_alu instid0(SALU_CYCLE_1)
	s_and_b32 s10, s10, exec_lo
	s_or_saveexec_b32 s22, s22
	v_mov_b32_e32 v19, s21
	s_xor_b32 exec_lo, exec_lo, s22
	s_cbranch_execz .LBB4_305
.LBB4_465:                              ;   in Loop: Header=BB4_130 Depth=3
	v_cmp_ne_u16_e64 vcc_lo, 0, v151
	v_mov_b32_e32 v19, 0
	s_and_not1_b32 s10, s10, exec_lo
	s_delay_alu instid0(VALU_DEP_2) | instskip(NEXT) | instid1(SALU_CYCLE_1)
	s_and_b32 s21, vcc_lo, exec_lo
	s_or_b32 s10, s10, s21
	s_or_b32 exec_lo, exec_lo, s22
	s_and_saveexec_b32 s21, s10
	s_cbranch_execnz .LBB4_306
	s_branch .LBB4_307
.LBB4_466:                              ;   in Loop: Header=BB4_130 Depth=3
	s_mov_b32 s10, -1
	s_mov_b32 s23, exec_lo
                                        ; implicit-def: $sgpr21
	v_cmpx_eq_u16_e64 0x80, v161
; %bb.467:                              ;   in Loop: Header=BB4_130 Depth=3
	s_mov_b32 s21, 0x7f800001
	s_xor_b32 s10, exec_lo, -1
; %bb.468:                              ;   in Loop: Header=BB4_130 Depth=3
	s_or_b32 exec_lo, exec_lo, s23
	s_delay_alu instid0(SALU_CYCLE_1)
	s_and_b32 s10, s10, exec_lo
                                        ; implicit-def: $vgpr161
	s_or_saveexec_b32 s22, s22
	v_mov_b32_e32 v160, s21
	s_xor_b32 exec_lo, exec_lo, s22
	s_cbranch_execz .LBB4_319
.LBB4_469:                              ;   in Loop: Header=BB4_130 Depth=3
	v_cmp_ne_u16_e64 vcc_lo, 0, v161
	v_mov_b32_e32 v160, 0
	s_and_not1_b32 s10, s10, exec_lo
	s_delay_alu instid0(VALU_DEP_2) | instskip(NEXT) | instid1(SALU_CYCLE_1)
	s_and_b32 s21, vcc_lo, exec_lo
	s_or_b32 s10, s10, s21
	s_or_b32 exec_lo, exec_lo, s22
	s_and_saveexec_b32 s21, s10
	s_cbranch_execnz .LBB4_320
	s_branch .LBB4_321
.LBB4_470:                              ;   in Loop: Header=BB4_130 Depth=3
	s_mov_b32 s10, -1
	s_mov_b32 s23, exec_lo
                                        ; implicit-def: $sgpr21
	v_cmpx_eq_u16_e64 0x80, v161
; %bb.471:                              ;   in Loop: Header=BB4_130 Depth=3
	s_mov_b32 s21, 0x7f800001
	s_xor_b32 s10, exec_lo, -1
; %bb.472:                              ;   in Loop: Header=BB4_130 Depth=3
	s_or_b32 exec_lo, exec_lo, s23
	s_delay_alu instid0(SALU_CYCLE_1)
	s_and_b32 s10, s10, exec_lo
                                        ; implicit-def: $vgpr161
	s_or_saveexec_b32 s22, s22
	v_mov_b32_e32 v151, s21
	s_xor_b32 exec_lo, exec_lo, s22
	s_cbranch_execz .LBB4_323
.LBB4_473:                              ;   in Loop: Header=BB4_130 Depth=3
	v_cmp_ne_u16_e64 vcc_lo, 0, v161
	v_mov_b32_e32 v151, 0
	s_and_not1_b32 s10, s10, exec_lo
	s_delay_alu instid0(VALU_DEP_2) | instskip(NEXT) | instid1(SALU_CYCLE_1)
	s_and_b32 s21, vcc_lo, exec_lo
	s_or_b32 s10, s10, s21
	s_or_b32 exec_lo, exec_lo, s22
	s_and_saveexec_b32 s21, s10
	s_cbranch_execnz .LBB4_324
	s_branch .LBB4_325
.LBB4_474:                              ;   in Loop: Header=BB4_130 Depth=3
	s_mov_b32 s10, -1
	s_mov_b32 s23, exec_lo
                                        ; implicit-def: $sgpr21
	v_cmpx_eq_u16_e64 0x80, v161
; %bb.475:                              ;   in Loop: Header=BB4_130 Depth=3
	s_mov_b32 s21, 0x7f800001
	s_xor_b32 s10, exec_lo, -1
; %bb.476:                              ;   in Loop: Header=BB4_130 Depth=3
	s_or_b32 exec_lo, exec_lo, s23
	s_delay_alu instid0(SALU_CYCLE_1)
	s_and_b32 s10, s10, exec_lo
                                        ; implicit-def: $vgpr161
	s_or_saveexec_b32 s22, s22
	v_mov_b32_e32 v160, s21
	s_xor_b32 exec_lo, exec_lo, s22
	s_cbranch_execz .LBB4_329
.LBB4_477:                              ;   in Loop: Header=BB4_130 Depth=3
	v_cmp_ne_u16_e64 vcc_lo, 0, v161
	v_mov_b32_e32 v160, 0
	s_and_not1_b32 s10, s10, exec_lo
	s_delay_alu instid0(VALU_DEP_2) | instskip(NEXT) | instid1(SALU_CYCLE_1)
	s_and_b32 s21, vcc_lo, exec_lo
	s_or_b32 s10, s10, s21
	s_or_b32 exec_lo, exec_lo, s22
	s_and_saveexec_b32 s21, s10
	s_cbranch_execnz .LBB4_330
	s_branch .LBB4_331
.LBB4_478:                              ;   in Loop: Header=BB4_130 Depth=3
	s_mov_b32 s10, -1
	s_mov_b32 s23, exec_lo
                                        ; implicit-def: $sgpr21
	v_cmpx_eq_u16_e64 0x80, v161
; %bb.479:                              ;   in Loop: Header=BB4_130 Depth=3
	s_mov_b32 s21, 0x7f800001
	s_xor_b32 s10, exec_lo, -1
; %bb.480:                              ;   in Loop: Header=BB4_130 Depth=3
	s_or_b32 exec_lo, exec_lo, s23
	s_delay_alu instid0(SALU_CYCLE_1)
	s_and_b32 s10, s10, exec_lo
                                        ; implicit-def: $vgpr161
	s_or_saveexec_b32 s22, s22
	v_mov_b32_e32 v151, s21
	s_xor_b32 exec_lo, exec_lo, s22
	s_cbranch_execz .LBB4_333
.LBB4_481:                              ;   in Loop: Header=BB4_130 Depth=3
	v_cmp_ne_u16_e64 vcc_lo, 0, v161
	v_mov_b32_e32 v151, 0
	s_and_not1_b32 s10, s10, exec_lo
	s_delay_alu instid0(VALU_DEP_2) | instskip(NEXT) | instid1(SALU_CYCLE_1)
	s_and_b32 s21, vcc_lo, exec_lo
	s_or_b32 s10, s10, s21
	s_or_b32 exec_lo, exec_lo, s22
	s_and_saveexec_b32 s21, s10
	s_cbranch_execnz .LBB4_334
	s_branch .LBB4_335
.LBB4_482:                              ;   in Loop: Header=BB4_130 Depth=3
	s_mov_b32 s10, -1
	s_mov_b32 s23, exec_lo
                                        ; implicit-def: $sgpr21
	v_cmpx_eq_u16_e32 0x80, v20
; %bb.483:                              ;   in Loop: Header=BB4_130 Depth=3
	s_mov_b32 s21, 0x7f800001
	s_xor_b32 s10, exec_lo, -1
; %bb.484:                              ;   in Loop: Header=BB4_130 Depth=3
	s_or_b32 exec_lo, exec_lo, s23
	s_delay_alu instid0(SALU_CYCLE_1)
	s_and_b32 s10, s10, exec_lo
	s_or_saveexec_b32 s22, s22
	v_mov_b32_e32 v161, s21
	s_xor_b32 exec_lo, exec_lo, s22
	s_cbranch_execz .LBB4_347
.LBB4_485:                              ;   in Loop: Header=BB4_130 Depth=3
	v_cmp_ne_u16_e32 vcc_lo, 0, v20
	v_mov_b32_e32 v161, 0
	s_and_not1_b32 s10, s10, exec_lo
	s_and_b32 s21, vcc_lo, exec_lo
	s_delay_alu instid0(SALU_CYCLE_1)
	s_or_b32 s10, s10, s21
	s_or_b32 exec_lo, exec_lo, s22
	s_and_saveexec_b32 s21, s10
	s_cbranch_execnz .LBB4_348
	s_branch .LBB4_349
.LBB4_486:                              ;   in Loop: Header=BB4_130 Depth=3
	s_mov_b32 s10, -1
	s_mov_b32 s23, exec_lo
                                        ; implicit-def: $sgpr21
	v_cmpx_eq_u16_e64 0x80, v160
; %bb.487:                              ;   in Loop: Header=BB4_130 Depth=3
	s_mov_b32 s21, 0x7f800001
	s_xor_b32 s10, exec_lo, -1
; %bb.488:                              ;   in Loop: Header=BB4_130 Depth=3
	s_or_b32 exec_lo, exec_lo, s23
	s_delay_alu instid0(SALU_CYCLE_1)
	s_and_b32 s10, s10, exec_lo
	s_or_saveexec_b32 s22, s22
	v_mov_b32_e32 v20, s21
	s_xor_b32 exec_lo, exec_lo, s22
	s_cbranch_execz .LBB4_351
.LBB4_489:                              ;   in Loop: Header=BB4_130 Depth=3
	v_cmp_ne_u16_e64 vcc_lo, 0, v160
	v_mov_b32_e32 v20, 0
	s_and_not1_b32 s10, s10, exec_lo
	s_delay_alu instid0(VALU_DEP_2) | instskip(NEXT) | instid1(SALU_CYCLE_1)
	s_and_b32 s21, vcc_lo, exec_lo
	s_or_b32 s10, s10, s21
	s_or_b32 exec_lo, exec_lo, s22
	s_and_saveexec_b32 s21, s10
	s_cbranch_execnz .LBB4_352
	s_branch .LBB4_353
.LBB4_490:                              ;   in Loop: Header=BB4_130 Depth=3
	s_mov_b32 s10, -1
	s_mov_b32 s23, exec_lo
                                        ; implicit-def: $sgpr21
	v_cmpx_eq_u16_e32 0x80, v20
; %bb.491:                              ;   in Loop: Header=BB4_130 Depth=3
	s_mov_b32 s21, 0x7f800001
	s_xor_b32 s10, exec_lo, -1
; %bb.492:                              ;   in Loop: Header=BB4_130 Depth=3
	s_or_b32 exec_lo, exec_lo, s23
	s_delay_alu instid0(SALU_CYCLE_1)
	s_and_b32 s10, s10, exec_lo
	s_or_saveexec_b32 s22, s22
	v_mov_b32_e32 v161, s21
	s_xor_b32 exec_lo, exec_lo, s22
	s_cbranch_execz .LBB4_357
.LBB4_493:                              ;   in Loop: Header=BB4_130 Depth=3
	v_cmp_ne_u16_e32 vcc_lo, 0, v20
	v_mov_b32_e32 v161, 0
	s_and_not1_b32 s10, s10, exec_lo
	s_and_b32 s21, vcc_lo, exec_lo
	s_delay_alu instid0(SALU_CYCLE_1)
	s_or_b32 s10, s10, s21
	s_or_b32 exec_lo, exec_lo, s22
	s_and_saveexec_b32 s21, s10
	s_cbranch_execnz .LBB4_358
	s_branch .LBB4_359
.LBB4_494:                              ;   in Loop: Header=BB4_130 Depth=3
	s_mov_b32 s10, -1
	s_mov_b32 s23, exec_lo
                                        ; implicit-def: $sgpr21
	v_cmpx_eq_u16_e64 0x80, v160
; %bb.495:                              ;   in Loop: Header=BB4_130 Depth=3
	s_mov_b32 s21, 0x7f800001
	s_xor_b32 s10, exec_lo, -1
; %bb.496:                              ;   in Loop: Header=BB4_130 Depth=3
	s_or_b32 exec_lo, exec_lo, s23
	s_delay_alu instid0(SALU_CYCLE_1)
	s_and_b32 s10, s10, exec_lo
	s_or_saveexec_b32 s22, s22
	v_mov_b32_e32 v20, s21
	s_xor_b32 exec_lo, exec_lo, s22
	s_cbranch_execz .LBB4_361
.LBB4_497:                              ;   in Loop: Header=BB4_130 Depth=3
	v_cmp_ne_u16_e64 vcc_lo, 0, v160
	v_mov_b32_e32 v20, 0
	s_and_not1_b32 s10, s10, exec_lo
	s_delay_alu instid0(VALU_DEP_2) | instskip(NEXT) | instid1(SALU_CYCLE_1)
	s_and_b32 s21, vcc_lo, exec_lo
	s_or_b32 s10, s10, s21
	s_or_b32 exec_lo, exec_lo, s22
	s_and_saveexec_b32 s21, s10
	s_cbranch_execnz .LBB4_362
	s_branch .LBB4_363
.LBB4_498:                              ;   in Loop: Header=BB4_85 Depth=2
	s_or_b32 exec_lo, exec_lo, s20
.LBB4_499:                              ;   in Loop: Header=BB4_85 Depth=2
	s_delay_alu instid0(SALU_CYCLE_1)
	s_or_b32 exec_lo, exec_lo, s19
	s_and_saveexec_b32 s9, s3
	s_cbranch_execz .LBB4_521
; %bb.500:                              ;   in Loop: Header=BB4_85 Depth=2
	s_and_saveexec_b32 s10, s4
	s_delay_alu instid0(SALU_CYCLE_1)
	s_xor_b32 s10, exec_lo, s10
	s_cbranch_execz .LBB4_518
; %bb.501:                              ;   in Loop: Header=BB4_85 Depth=2
	s_and_saveexec_b32 s19, s5
	s_cbranch_execz .LBB4_517
; %bb.502:                              ;   in Loop: Header=BB4_85 Depth=2
	s_mov_b32 s21, exec_lo
	s_mov_b32 s20, exec_lo
	v_mbcnt_lo_u32_b32 v17, s21, 0
	s_waitcnt vmcnt(0) lgkmcnt(0)
	s_waitcnt_vscnt null, 0x0
	buffer_gl1_inv
	buffer_gl0_inv
	v_cmpx_eq_u32_e32 0, v17
	s_cbranch_execz .LBB4_504
; %bb.503:                              ;   in Loop: Header=BB4_85 Depth=2
	s_bcnt1_i32_b32 s21, s21
	s_delay_alu instid0(SALU_CYCLE_1)
	v_mov_b32_e32 v54, s21
	ds_add_u64 v0, v[54:55]
	s_cbranch_execnz .LBB4_1002
.LBB4_504:                              ;   in Loop: Header=BB4_85 Depth=2
	s_or_b32 exec_lo, exec_lo, s20
	s_cbranch_execnz .LBB4_994
; %bb.505:                              ;   in Loop: Header=BB4_85 Depth=2
	ds_load_b64 v[17:18], v0
	v_add_co_u32 v2, vcc_lo, v2, v100
	v_add_co_ci_u32_e32 v3, vcc_lo, v3, v103, vcc_lo
	s_mov_b32 s20, exec_lo
	s_waitcnt lgkmcnt(0)
	s_delay_alu instid0(VALU_DEP_1)
	v_cmpx_lt_u64_e64 v[17:18], v[2:3]
	s_cbranch_execz .LBB4_516
; %bb.506:                              ;   in Loop: Header=BB4_85 Depth=2
	s_mov_b32 s21, 0
	s_mov_b32 s24, 0
                                        ; implicit-def: $sgpr22
                                        ; implicit-def: $sgpr23
	s_branch .LBB4_508
.LBB4_507:                              ;   in Loop: Header=BB4_508 Depth=3
	s_or_b32 exec_lo, exec_lo, s27
	s_delay_alu instid0(SALU_CYCLE_1) | instskip(NEXT) | instid1(SALU_CYCLE_1)
	s_and_b32 s25, exec_lo, s26
	s_or_b32 s21, s25, s21
	s_and_not1_b32 s22, s22, exec_lo
	s_and_b32 s25, s23, exec_lo
	s_delay_alu instid0(SALU_CYCLE_1)
	s_or_b32 s22, s22, s25
	s_and_not1_b32 exec_lo, exec_lo, s21
	s_cbranch_execz .LBB4_514
.LBB4_508:                              ;   Parent Loop BB4_32 Depth=1
                                        ;     Parent Loop BB4_85 Depth=2
                                        ; =>    This Inner Loop Header: Depth=3
	s_add_i32 s24, s24, 1
                                        ; implicit-def: $sgpr26
	s_delay_alu instid0(SALU_CYCLE_1) | instskip(SKIP_1) | instid1(SALU_CYCLE_1)
	s_cmpk_lg_i32 s24, 0x2710
	s_cselect_b32 s25, -1, 0
	s_and_b32 vcc_lo, exec_lo, s25
	s_cbranch_vccz .LBB4_512
.LBB4_509:                              ;   in Loop: Header=BB4_508 Depth=3
	s_and_not1_b32 s23, s23, exec_lo
	s_and_b32 s27, s26, exec_lo
	s_mov_b32 s26, -1
	s_or_b32 s23, s23, s27
	s_and_saveexec_b32 s27, s25
	s_cbranch_execz .LBB4_507
; %bb.510:                              ;   in Loop: Header=BB4_508 Depth=3
	s_sleep 1
	s_cbranch_execnz .LBB4_1014
; %bb.511:                              ;   in Loop: Header=BB4_508 Depth=3
	ds_load_b64 v[17:18], v0
	s_and_not1_b32 s23, s23, exec_lo
	s_waitcnt lgkmcnt(0)
	v_cmp_ge_u64_e32 vcc_lo, v[17:18], v[2:3]
	s_or_not1_b32 s26, vcc_lo, exec_lo
	s_branch .LBB4_507
.LBB4_512:                              ;   in Loop: Header=BB4_508 Depth=3
	s_cbranch_execnz .LBB4_1016
; %bb.513:                              ;   in Loop: Header=BB4_508 Depth=3
	ds_load_b64 v[17:18], v0
	s_and_not1_b32 s25, s25, exec_lo
	s_mov_b32 s24, 0
	s_mov_b32 s26, -1
	s_waitcnt lgkmcnt(0)
	flat_load_b32 v17, v[17:18] glc
	s_waitcnt vmcnt(0) lgkmcnt(0)
	buffer_gl1_inv
	buffer_gl0_inv
	v_cmp_eq_u32_e32 vcc_lo, 0, v17
	s_and_b32 s27, vcc_lo, exec_lo
	s_delay_alu instid0(SALU_CYCLE_1)
	s_or_b32 s25, s25, s27
	s_branch .LBB4_509
.LBB4_514:                              ;   in Loop: Header=BB4_85 Depth=2
	s_or_b32 exec_lo, exec_lo, s21
	s_and_saveexec_b32 s21, s22
	s_delay_alu instid0(SALU_CYCLE_1)
	s_xor_b32 s21, exec_lo, s21
	s_cbranch_execz .LBB4_516
; %bb.515:                              ;   in Loop: Header=BB4_85 Depth=2
	ds_store_b32 v0, v129
	s_cbranch_execnz .LBB4_1035
.LBB4_516:                              ;   in Loop: Header=BB4_85 Depth=2
	s_or_b32 exec_lo, exec_lo, s20
	;;#ASMSTART
	s_wakeup
	;;#ASMEND
.LBB4_517:                              ;   in Loop: Header=BB4_85 Depth=2
	s_or_b32 exec_lo, exec_lo, s19
.LBB4_518:                              ;   in Loop: Header=BB4_85 Depth=2
	s_and_not1_saveexec_b32 s10, s10
	s_cbranch_execz .LBB4_520
; %bb.519:                              ;   in Loop: Header=BB4_85 Depth=2
	s_waitcnt vmcnt(0) lgkmcnt(0)
	s_waitcnt_vscnt null, 0x0
	buffer_gl1_inv
	buffer_gl0_inv
	s_barrier
.LBB4_520:                              ;   in Loop: Header=BB4_85 Depth=2
	s_or_b32 exec_lo, exec_lo, s10
.LBB4_521:                              ;   in Loop: Header=BB4_85 Depth=2
	s_delay_alu instid0(SALU_CYCLE_1)
	s_or_b32 exec_lo, exec_lo, s9
	s_and_saveexec_b32 s9, s7
	s_cbranch_execz .LBB4_523
; %bb.522:                              ;   in Loop: Header=BB4_85 Depth=2
	v_add_co_u32 v48, vcc_lo, v48, 1
	v_add_co_ci_u32_e32 v49, vcc_lo, 0, v49, vcc_lo
	s_waitcnt vmcnt(0) lgkmcnt(0)
	s_waitcnt_vscnt null, 0x0
	flat_store_b64 v[36:37], v[48:49]
.LBB4_523:                              ;   in Loop: Header=BB4_85 Depth=2
	s_or_b32 exec_lo, exec_lo, s9
	v_and_b32_e32 v54, 0x7ffffff8, v70
	v_cmp_gt_i32_e64 s9, s13, v82
	s_delay_alu instid0(VALU_DEP_2) | instskip(NEXT) | instid1(VALU_DEP_2)
	v_cmp_eq_u64_e32 vcc_lo, 0x7ffffff8, v[54:55]
	s_and_b32 s9, vcc_lo, s9
	s_delay_alu instid0(SALU_CYCLE_1)
	s_and_saveexec_b32 s10, s9
	s_cbranch_execz .LBB4_526
; %bb.524:                              ;   in Loop: Header=BB4_85 Depth=2
	v_and_b32_e32 v17, 7, v135
	v_ashrrev_i32_e32 v83, 31, v82
	v_mov_b32_e32 v21, v70
	s_mov_b32 s19, 0
	s_delay_alu instid0(VALU_DEP_3) | instskip(SKIP_2) | instid1(VALU_DEP_2)
	v_mul_lo_u32 v17, s13, v17
	s_waitcnt vmcnt(0) lgkmcnt(0)
	v_lshlrev_b64 v[19:20], 4, v[82:83]
	v_ashrrev_i32_e32 v18, 31, v17
	s_delay_alu instid0(VALU_DEP_1) | instskip(NEXT) | instid1(VALU_DEP_1)
	v_lshlrev_b64 v[17:18], 4, v[17:18]
	v_add_co_u32 v19, vcc_lo, v19, v17
	s_delay_alu instid0(VALU_DEP_2) | instskip(SKIP_2) | instid1(VALU_DEP_4)
	v_add_co_ci_u32_e32 v20, vcc_lo, v20, v18, vcc_lo
	v_add_co_u32 v17, vcc_lo, 0, 0
	v_add_co_ci_u32_e32 v18, vcc_lo, 1, v21, vcc_lo
	v_add_co_u32 v21, vcc_lo, v38, v19
	s_delay_alu instid0(VALU_DEP_4)
	v_add_co_ci_u32_e32 v22, vcc_lo, v39, v20, vcc_lo
.LBB4_525:                              ;   Parent Loop BB4_32 Depth=1
                                        ;     Parent Loop BB4_85 Depth=2
                                        ; =>    This Inner Loop Header: Depth=3
	s_delay_alu instid0(VALU_DEP_4) | instskip(NEXT) | instid1(VALU_DEP_4)
	v_dual_mov_b32 v19, v17 :: v_dual_add_nc_u32 v82, v82, v1
	v_mov_b32_e32 v20, v18
	s_delay_alu instid0(VALU_DEP_2) | instskip(SKIP_2) | instid1(VALU_DEP_1)
	v_cmp_le_i32_e32 vcc_lo, s13, v82
	global_store_b128 v[21:22], v[17:20], off
	v_add_co_u32 v21, s9, v21, v68
	v_add_co_ci_u32_e64 v22, s9, v22, v69, s9
	s_or_b32 s19, vcc_lo, s19
	s_delay_alu instid0(SALU_CYCLE_1)
	s_and_not1_b32 exec_lo, exec_lo, s19
	s_cbranch_execnz .LBB4_525
.LBB4_526:                              ;   in Loop: Header=BB4_85 Depth=2
	s_or_b32 exec_lo, exec_lo, s10
	v_add_co_u32 v32, vcc_lo, v32, 1
	v_add_co_ci_u32_e32 v33, vcc_lo, 0, v33, vcc_lo
	v_add_co_u32 v70, vcc_lo, v70, 1
	v_add_co_ci_u32_e32 v71, vcc_lo, 0, v71, vcc_lo
	v_add_nc_u16 v135, v135, 1
	s_add_i32 s18, s18, 1
	s_delay_alu instid0(SALU_CYCLE_1)
	s_cmp_eq_u32 s18, s14
	s_cbranch_scc0 .LBB4_85
.LBB4_527:                              ;   in Loop: Header=BB4_32 Depth=1
	s_delay_alu instid0(VALU_DEP_1)
	v_dual_mov_b32 v21, v70 :: v_dual_mov_b32 v22, v71
	s_and_saveexec_b32 s10, s8
	s_cbranch_execz .LBB4_919
; %bb.528:                              ;   in Loop: Header=BB4_32 Depth=1
	flat_load_b32 v54, v[23:24]
	v_and_b32_e32 v17, 7, v32
	s_waitcnt vmcnt(1) lgkmcnt(1)
	v_add_co_u32 v19, vcc_lo, v11, v133
	v_add_co_ci_u32_e32 v20, vcc_lo, v12, v134, vcc_lo
	s_delay_alu instid0(VALU_DEP_3) | instskip(SKIP_1) | instid1(VALU_DEP_1)
	v_mul_lo_u32 v17, v17, s13
	s_mov_b32 s18, 0
	v_ashrrev_i32_e32 v18, 31, v17
	s_delay_alu instid0(VALU_DEP_1)
	v_lshlrev_b64 v[17:18], 4, v[17:18]
	s_waitcnt vmcnt(0) lgkmcnt(0)
	v_ashrrev_i32_e32 v70, 31, v54
	v_mul_lo_u32 v82, v99, v54
	v_mad_u64_u32 v[80:81], null, v98, v54, v[19:20]
	v_add_nc_u32_e32 v54, 1, v32
	s_delay_alu instid0(VALU_DEP_4)
	v_mul_lo_u32 v19, v98, v70
	v_add_co_u32 v70, vcc_lo, v116, v133
	v_add_co_ci_u32_e32 v71, vcc_lo, v117, v134, vcc_lo
	v_add_co_u32 v83, vcc_lo, v29, v17
	v_add_co_ci_u32_e32 v84, vcc_lo, v30, v18, vcc_lo
	v_add3_u32 v19, v82, v81, v19
	v_add_co_u32 v85, vcc_lo, v80, v101
	v_mov_b32_e32 v80, v4
	s_delay_alu instid0(VALU_DEP_3)
	v_add_co_ci_u32_e32 v86, vcc_lo, v19, v112, vcc_lo
	s_branch .LBB4_530
.LBB4_529:                              ;   in Loop: Header=BB4_530 Depth=2
	v_sub_nc_u32_e32 v131, v131, v102
	v_add_co_u32 v85, vcc_lo, v85, v102
	v_add_co_ci_u32_e32 v86, vcc_lo, v86, v113, vcc_lo
	s_delay_alu instid0(VALU_DEP_3) | instskip(SKIP_1) | instid1(VALU_DEP_1)
	v_cmp_gt_i32_e32 vcc_lo, 1, v131
	v_add_co_u32 v70, s8, v70, v102
	v_add_co_ci_u32_e64 v71, s8, v71, v113, s8
	v_add_nc_u32_e32 v80, v80, v1
	s_or_b32 s18, vcc_lo, s18
	s_delay_alu instid0(SALU_CYCLE_1)
	s_and_not1_b32 exec_lo, exec_lo, s18
	s_cbranch_execz .LBB4_918
.LBB4_530:                              ;   Parent Loop BB4_32 Depth=1
                                        ; =>  This Loop Header: Depth=2
                                        ;       Child Loop BB4_538 Depth 3
	s_delay_alu instid0(VALU_DEP_1)
	v_dual_mov_b32 v18, v86 :: v_dual_and_b32 v17, -4, v85
	v_min_u32_e32 v19, 8, v131
	v_dual_mov_b32 v87, 0 :: v_dual_and_b32 v20, 3, v85
	v_mov_b32_e32 v96, 0
	flat_load_b32 v97, v[17:18] glc
	v_add_co_u32 v19, s8, v20, v19
	s_delay_alu instid0(VALU_DEP_1) | instskip(SKIP_1) | instid1(VALU_DEP_1)
	v_add_co_ci_u32_e64 v20, null, 0, 0, s8
	s_mov_b32 s8, exec_lo
	v_cmpx_lt_u64_e32 4, v[19:20]
	s_cbranch_execz .LBB4_532
; %bb.531:                              ;   in Loop: Header=BB4_530 Depth=2
	flat_load_b32 v96, v[17:18] offset:4 glc
.LBB4_532:                              ;   in Loop: Header=BB4_530 Depth=2
	s_or_b32 exec_lo, exec_lo, s8
	s_delay_alu instid0(SALU_CYCLE_1)
	s_mov_b32 s8, exec_lo
	v_cmpx_lt_u64_e32 8, v[19:20]
	s_cbranch_execz .LBB4_534
; %bb.533:                              ;   in Loop: Header=BB4_530 Depth=2
	flat_load_b32 v87, v[17:18] offset:8 glc
.LBB4_534:                              ;   in Loop: Header=BB4_530 Depth=2
	s_or_b32 exec_lo, exec_lo, s8
	v_ashrrev_i32_e32 v81, 31, v80
	s_delay_alu instid0(VALU_DEP_1) | instskip(NEXT) | instid1(VALU_DEP_1)
	v_lshlrev_b64 v[17:18], 4, v[80:81]
	v_add_co_u32 v81, vcc_lo, v83, v17
	s_delay_alu instid0(VALU_DEP_2)
	v_add_co_ci_u32_e32 v82, vcc_lo, v84, v18, vcc_lo
	v_cmp_eq_u32_e32 vcc_lo, 0, v130
	;;#ASMSTART
	global_load_b128 v[17:20], v[81:82], off glc slc dlc
s_waitcnt vmcnt(0)

	;;#ASMEND
	s_and_saveexec_b32 s19, vcc_lo
	s_cbranch_execz .LBB4_548
; %bb.535:                              ;   in Loop: Header=BB4_530 Depth=2
	v_cmp_ne_u32_e64 s8, v54, v18
	v_cmp_ne_u32_e64 s9, v54, v20
	v_mov_b32_e32 v130, 0
	s_delay_alu instid0(VALU_DEP_2) | instskip(NEXT) | instid1(SALU_CYCLE_1)
	s_or_b32 s8, s8, s9
	s_and_saveexec_b32 s9, s8
	s_cbranch_execz .LBB4_547
; %bb.536:                              ;   in Loop: Header=BB4_530 Depth=2
	v_cndmask_b32_e64 v132, 0, 1, vcc_lo
	s_mov_b32 s20, 0
                                        ; implicit-def: $sgpr21
                                        ; implicit-def: $sgpr22
	s_branch .LBB4_538
.LBB4_537:                              ;   in Loop: Header=BB4_538 Depth=3
	s_or_b32 exec_lo, exec_lo, s23
	s_delay_alu instid0(SALU_CYCLE_1) | instskip(NEXT) | instid1(SALU_CYCLE_1)
	s_and_b32 s8, exec_lo, s8
	s_or_b32 s20, s8, s20
	s_and_not1_b32 s8, s21, exec_lo
	s_and_b32 s21, s22, exec_lo
	s_delay_alu instid0(SALU_CYCLE_1)
	s_or_b32 s21, s8, s21
	s_and_not1_b32 exec_lo, exec_lo, s20
	s_cbranch_execz .LBB4_546
.LBB4_538:                              ;   Parent Loop BB4_32 Depth=1
                                        ;     Parent Loop BB4_530 Depth=2
                                        ; =>    This Inner Loop Header: Depth=3
	s_delay_alu instid0(VALU_DEP_1)
	v_add_nc_u32_e32 v132, 1, v132
	v_mov_b32_e32 v130, 0
	s_mov_b32 s8, -1
	s_mov_b32 s24, -1
	s_mov_b32 s23, exec_lo
	;;#ASMSTART
	global_load_b128 v[17:20], v[81:82], off glc slc dlc
s_waitcnt vmcnt(0)

	;;#ASMEND
	v_cmpx_eq_u32_e32 0x2710, v132
	s_cbranch_execz .LBB4_544
; %bb.539:                              ;   in Loop: Header=BB4_538 Depth=3
	s_cbranch_execnz .LBB4_961
; %bb.540:                              ;   in Loop: Header=BB4_538 Depth=3
	ds_load_b64 v[132:133], v0
	v_mov_b32_e32 v130, 0
	s_mov_b32 s25, -1
	s_mov_b32 s24, exec_lo
	s_waitcnt vmcnt(0) lgkmcnt(0)
	s_waitcnt_vscnt null, 0x0
	flat_load_b32 v133, v[132:133] glc
	s_waitcnt vmcnt(0) lgkmcnt(0)
	buffer_gl1_inv
	buffer_gl0_inv
	v_mov_b32_e32 v132, 0
	v_cmpx_ne_u32_e32 0, v133
	s_cbranch_execz .LBB4_543
; %bb.541:                              ;   in Loop: Header=BB4_538 Depth=3
	ds_store_b32 v0, v133
	s_cbranch_execnz .LBB4_973
; %bb.542:                              ;   in Loop: Header=BB4_538 Depth=3
	v_mov_b32_e32 v130, 1
	s_xor_b32 s25, exec_lo, -1
.LBB4_543:                              ;   in Loop: Header=BB4_538 Depth=3
	s_or_b32 exec_lo, exec_lo, s24
	s_delay_alu instid0(SALU_CYCLE_1)
	s_or_not1_b32 s24, s25, exec_lo
.LBB4_544:                              ;   in Loop: Header=BB4_538 Depth=3
	s_or_b32 exec_lo, exec_lo, s23
	s_delay_alu instid0(SALU_CYCLE_1)
	s_or_b32 s22, s22, exec_lo
	s_and_saveexec_b32 s23, s24
	s_cbranch_execz .LBB4_537
; %bb.545:                              ;   in Loop: Header=BB4_538 Depth=3
	v_cmp_eq_u32_e32 vcc_lo, v54, v18
	v_cmp_eq_u32_e64 s8, v54, v20
	s_and_not1_b32 s22, s22, exec_lo
	s_delay_alu instid0(VALU_DEP_1) | instskip(NEXT) | instid1(SALU_CYCLE_1)
	s_and_b32 s8, vcc_lo, s8
	s_or_not1_b32 s8, s8, exec_lo
	s_branch .LBB4_537
.LBB4_546:                              ;   in Loop: Header=BB4_530 Depth=2
	s_or_b32 exec_lo, exec_lo, s20
	s_xor_b32 s8, s21, -1
	s_delay_alu instid0(SALU_CYCLE_1) | instskip(NEXT) | instid1(SALU_CYCLE_1)
	s_and_saveexec_b32 s20, s8
	s_xor_b32 s8, exec_lo, s20
	s_delay_alu instid0(SALU_CYCLE_1) | instskip(NEXT) | instid1(SALU_CYCLE_1)
	s_and_not1_saveexec_b32 s8, s8
	s_or_b32 exec_lo, exec_lo, s8
.LBB4_547:                              ;   in Loop: Header=BB4_530 Depth=2
	s_delay_alu instid0(SALU_CYCLE_1)
	s_or_b32 exec_lo, exec_lo, s9
.LBB4_548:                              ;   in Loop: Header=BB4_530 Depth=2
	s_delay_alu instid0(SALU_CYCLE_1) | instskip(SKIP_2) | instid1(VALU_DEP_1)
	s_or_b32 exec_lo, exec_lo, s19
	v_lshlrev_b32_e32 v18, 3, v85
                                        ; implicit-def: $vgpr81
	s_waitcnt vmcnt(0) lgkmcnt(0)
	v_alignbit_b32 v97, v96, v97, v18
	s_and_saveexec_b32 s8, s6
	s_delay_alu instid0(SALU_CYCLE_1)
	s_xor_b32 s8, exec_lo, s8
	s_cbranch_execz .LBB4_558
; %bb.549:                              ;   in Loop: Header=BB4_530 Depth=2
	v_and_b32_e32 v81, 0xff, v17
	s_mov_b32 s9, 0
	s_mov_b32 s20, exec_lo
                                        ; implicit-def: $sgpr19
	s_delay_alu instid0(VALU_DEP_1)
	v_cmpx_lt_i16_e32 0x7f, v81
	s_xor_b32 s20, exec_lo, s20
	s_cbranch_execnz .LBB4_790
; %bb.550:                              ;   in Loop: Header=BB4_530 Depth=2
	s_or_saveexec_b32 s20, s20
	v_mov_b32_e32 v20, s19
	s_xor_b32 exec_lo, exec_lo, s20
	s_cbranch_execnz .LBB4_793
.LBB4_551:                              ;   in Loop: Header=BB4_530 Depth=2
	s_or_b32 exec_lo, exec_lo, s20
	s_and_saveexec_b32 s19, s9
	s_cbranch_execz .LBB4_553
.LBB4_552:                              ;   in Loop: Header=BB4_530 Depth=2
	v_and_b32_e32 v20, 3, v17
	v_bfe_u32 v132, v17, 2, 5
	s_delay_alu instid0(VALU_DEP_2) | instskip(NEXT) | instid1(VALU_DEP_2)
	v_clz_i32_u32_e32 v81, v20
	v_cmp_eq_u32_e32 vcc_lo, 0, v132
	s_delay_alu instid0(VALU_DEP_2) | instskip(NEXT) | instid1(VALU_DEP_1)
	v_min_u32_e32 v81, 32, v81
	v_subrev_nc_u32_e32 v82, 29, v81
	v_sub_nc_u32_e32 v81, 30, v81
	s_delay_alu instid0(VALU_DEP_2) | instskip(NEXT) | instid1(VALU_DEP_1)
	v_lshlrev_b32_e32 v82, v82, v17
	v_dual_cndmask_b32 v81, v132, v81 :: v_dual_and_b32 v82, 3, v82
	v_lshlrev_b32_e32 v133, 24, v17
	s_delay_alu instid0(VALU_DEP_2) | instskip(NEXT) | instid1(VALU_DEP_3)
	v_lshl_add_u32 v81, v81, 23, 0x37800000
	v_cndmask_b32_e32 v20, v20, v82, vcc_lo
	s_delay_alu instid0(VALU_DEP_3) | instskip(NEXT) | instid1(VALU_DEP_2)
	v_and_b32_e32 v82, 0x80000000, v133
	v_lshlrev_b32_e32 v20, 21, v20
	s_delay_alu instid0(VALU_DEP_1)
	v_or3_b32 v20, v82, v81, v20
.LBB4_553:                              ;   in Loop: Header=BB4_530 Depth=2
	s_or_b32 exec_lo, exec_lo, s19
	v_and_b32_e32 v82, 0xff, v97
	s_mov_b32 s9, 0
	s_mov_b32 s20, exec_lo
                                        ; implicit-def: $sgpr19
	s_delay_alu instid0(VALU_DEP_1)
	v_cmpx_lt_i16_e32 0x7f, v82
	s_xor_b32 s20, exec_lo, s20
	s_cbranch_execnz .LBB4_794
; %bb.554:                              ;   in Loop: Header=BB4_530 Depth=2
	s_or_saveexec_b32 s20, s20
	v_mov_b32_e32 v81, s19
	s_xor_b32 exec_lo, exec_lo, s20
	s_cbranch_execnz .LBB4_797
.LBB4_555:                              ;   in Loop: Header=BB4_530 Depth=2
	s_or_b32 exec_lo, exec_lo, s20
	s_and_saveexec_b32 s19, s9
	s_cbranch_execz .LBB4_557
.LBB4_556:                              ;   in Loop: Header=BB4_530 Depth=2
	v_bfe_u32 v133, v97, 2, 5
	s_delay_alu instid0(VALU_DEP_1) | instskip(SKIP_1) | instid1(VALU_DEP_1)
	v_cmp_eq_u32_e32 vcc_lo, 0, v133
	v_and_b32_e32 v81, 3, v97
	v_clz_i32_u32_e32 v82, v81
	s_delay_alu instid0(VALU_DEP_1) | instskip(NEXT) | instid1(VALU_DEP_1)
	v_min_u32_e32 v82, 32, v82
	v_subrev_nc_u32_e32 v132, 29, v82
	v_sub_nc_u32_e32 v82, 30, v82
	s_delay_alu instid0(VALU_DEP_2) | instskip(NEXT) | instid1(VALU_DEP_2)
	v_lshlrev_b32_e32 v132, v132, v97
	v_cndmask_b32_e32 v82, v133, v82, vcc_lo
	s_delay_alu instid0(VALU_DEP_2) | instskip(SKIP_1) | instid1(VALU_DEP_3)
	v_and_b32_e32 v132, 3, v132
	v_lshlrev_b32_e32 v134, 24, v97
	v_lshl_add_u32 v82, v82, 23, 0x37800000
	s_delay_alu instid0(VALU_DEP_2) | instskip(NEXT) | instid1(VALU_DEP_1)
	v_dual_cndmask_b32 v81, v81, v132 :: v_dual_and_b32 v132, 0x80000000, v134
	v_lshlrev_b32_e32 v81, 21, v81
	s_delay_alu instid0(VALU_DEP_1)
	v_or3_b32 v81, v132, v82, v81
.LBB4_557:                              ;   in Loop: Header=BB4_530 Depth=2
	s_or_b32 exec_lo, exec_lo, s19
	s_delay_alu instid0(VALU_DEP_1) | instskip(NEXT) | instid1(VALU_DEP_1)
	v_dual_max_f32 v81, v81, v81 :: v_dual_max_f32 v20, v20, v20
	v_max_f32_e32 v81, v20, v81
.LBB4_558:                              ;   in Loop: Header=BB4_530 Depth=2
	s_and_not1_saveexec_b32 s8, s8
	s_cbranch_execz .LBB4_568
; %bb.559:                              ;   in Loop: Header=BB4_530 Depth=2
	v_and_b32_e32 v81, 0xff, v17
	s_mov_b32 s9, 0
	s_mov_b32 s20, exec_lo
                                        ; implicit-def: $sgpr19
	s_delay_alu instid0(VALU_DEP_1)
	v_cmpx_lt_i16_e32 0x7f, v81
	s_xor_b32 s20, exec_lo, s20
	s_cbranch_execnz .LBB4_798
; %bb.560:                              ;   in Loop: Header=BB4_530 Depth=2
	s_or_saveexec_b32 s20, s20
	v_mov_b32_e32 v20, s19
	s_xor_b32 exec_lo, exec_lo, s20
	s_cbranch_execnz .LBB4_801
.LBB4_561:                              ;   in Loop: Header=BB4_530 Depth=2
	s_or_b32 exec_lo, exec_lo, s20
	s_and_saveexec_b32 s19, s9
	s_cbranch_execz .LBB4_563
.LBB4_562:                              ;   in Loop: Header=BB4_530 Depth=2
	v_and_b32_e32 v20, 3, v17
	v_bfe_u32 v132, v17, 2, 5
	s_delay_alu instid0(VALU_DEP_2) | instskip(NEXT) | instid1(VALU_DEP_2)
	v_clz_i32_u32_e32 v81, v20
	v_cmp_eq_u32_e32 vcc_lo, 0, v132
	s_delay_alu instid0(VALU_DEP_2) | instskip(NEXT) | instid1(VALU_DEP_1)
	v_min_u32_e32 v81, 32, v81
	v_subrev_nc_u32_e32 v82, 29, v81
	v_sub_nc_u32_e32 v81, 30, v81
	s_delay_alu instid0(VALU_DEP_2) | instskip(NEXT) | instid1(VALU_DEP_1)
	v_lshlrev_b32_e32 v82, v82, v17
	v_dual_cndmask_b32 v81, v132, v81 :: v_dual_and_b32 v82, 3, v82
	v_lshlrev_b32_e32 v133, 24, v17
	s_delay_alu instid0(VALU_DEP_2) | instskip(NEXT) | instid1(VALU_DEP_3)
	v_lshl_add_u32 v81, v81, 23, 0x37800000
	v_cndmask_b32_e32 v20, v20, v82, vcc_lo
	s_delay_alu instid0(VALU_DEP_3) | instskip(NEXT) | instid1(VALU_DEP_2)
	v_and_b32_e32 v82, 0x80000000, v133
	v_lshlrev_b32_e32 v20, 21, v20
	s_delay_alu instid0(VALU_DEP_1)
	v_or3_b32 v20, v82, v81, v20
.LBB4_563:                              ;   in Loop: Header=BB4_530 Depth=2
	s_or_b32 exec_lo, exec_lo, s19
	v_and_b32_e32 v82, 0xff, v97
	s_mov_b32 s9, 0
	s_mov_b32 s20, exec_lo
                                        ; implicit-def: $sgpr19
	s_delay_alu instid0(VALU_DEP_1)
	v_cmpx_lt_i16_e32 0x7f, v82
	s_xor_b32 s20, exec_lo, s20
	s_cbranch_execnz .LBB4_802
; %bb.564:                              ;   in Loop: Header=BB4_530 Depth=2
	s_or_saveexec_b32 s20, s20
	v_mov_b32_e32 v81, s19
	s_xor_b32 exec_lo, exec_lo, s20
	s_cbranch_execnz .LBB4_805
.LBB4_565:                              ;   in Loop: Header=BB4_530 Depth=2
	s_or_b32 exec_lo, exec_lo, s20
	s_and_saveexec_b32 s19, s9
	s_cbranch_execz .LBB4_567
.LBB4_566:                              ;   in Loop: Header=BB4_530 Depth=2
	v_bfe_u32 v133, v97, 2, 5
	s_delay_alu instid0(VALU_DEP_1) | instskip(SKIP_1) | instid1(VALU_DEP_1)
	v_cmp_eq_u32_e32 vcc_lo, 0, v133
	v_and_b32_e32 v81, 3, v97
	v_clz_i32_u32_e32 v82, v81
	s_delay_alu instid0(VALU_DEP_1) | instskip(NEXT) | instid1(VALU_DEP_1)
	v_min_u32_e32 v82, 32, v82
	v_subrev_nc_u32_e32 v132, 29, v82
	v_sub_nc_u32_e32 v82, 30, v82
	s_delay_alu instid0(VALU_DEP_2) | instskip(NEXT) | instid1(VALU_DEP_2)
	v_lshlrev_b32_e32 v132, v132, v97
	v_cndmask_b32_e32 v82, v133, v82, vcc_lo
	s_delay_alu instid0(VALU_DEP_2) | instskip(SKIP_1) | instid1(VALU_DEP_3)
	v_and_b32_e32 v132, 3, v132
	v_lshlrev_b32_e32 v134, 24, v97
	v_lshl_add_u32 v82, v82, 23, 0x37800000
	s_delay_alu instid0(VALU_DEP_2) | instskip(NEXT) | instid1(VALU_DEP_1)
	v_dual_cndmask_b32 v81, v81, v132 :: v_dual_and_b32 v132, 0x80000000, v134
	v_lshlrev_b32_e32 v81, 21, v81
	s_delay_alu instid0(VALU_DEP_1)
	v_or3_b32 v81, v132, v82, v81
.LBB4_567:                              ;   in Loop: Header=BB4_530 Depth=2
	s_or_b32 exec_lo, exec_lo, s19
	s_delay_alu instid0(VALU_DEP_1) | instskip(NEXT) | instid1(VALU_DEP_1)
	v_dual_max_f32 v81, v81, v81 :: v_dual_max_f32 v20, v20, v20
	v_min_f32_e32 v81, v20, v81
.LBB4_568:                              ;   in Loop: Header=BB4_530 Depth=2
	s_or_b32 exec_lo, exec_lo, s8
	s_delay_alu instid0(VALU_DEP_1) | instskip(NEXT) | instid1(VALU_DEP_1)
	v_and_b32_e32 v20, 0x7f800000, v81
	v_cmp_ne_u32_e32 vcc_lo, 0x7f800000, v20
	v_mov_b32_e32 v20, 0x80
	s_and_saveexec_b32 s9, vcc_lo
	s_cbranch_execz .LBB4_576
; %bb.569:                              ;   in Loop: Header=BB4_530 Depth=2
	v_mov_b32_e32 v20, 0
	s_mov_b32 s19, exec_lo
	v_cmpx_ne_u32_e32 0, v81
	s_cbranch_execz .LBB4_575
; %bb.570:                              ;   in Loop: Header=BB4_530 Depth=2
	v_bfe_u32 v20, v81, 23, 8
	v_and_b32_e32 v82, 0x7fffff, v81
	s_delay_alu instid0(VALU_DEP_2) | instskip(SKIP_1) | instid1(VALU_DEP_3)
	v_sub_nc_u32_e32 v132, 0x70, v20
	v_cmp_gt_u32_e32 vcc_lo, 0x71, v20
	v_or_b32_e32 v133, 0x800000, v82
	s_delay_alu instid0(VALU_DEP_3) | instskip(SKIP_2) | instid1(VALU_DEP_3)
	v_cndmask_b32_e32 v132, 0, v132, vcc_lo
	v_cmp_eq_u32_e32 vcc_lo, 0, v20
	v_add_nc_u32_e32 v20, 0xffffff91, v20
	v_cndmask_b32_e64 v132, v132, 0x6f, vcc_lo
	v_cndmask_b32_e32 v82, v133, v82, vcc_lo
	s_delay_alu instid0(VALU_DEP_3) | instskip(NEXT) | instid1(VALU_DEP_3)
	v_cndmask_b32_e64 v20, v20, 0xffffff92, vcc_lo
	v_lshl_add_u32 v133, 0x200000, v132, -1
	s_delay_alu instid0(VALU_DEP_3) | instskip(SKIP_1) | instid1(VALU_DEP_4)
	v_lshrrev_b32_e32 v134, v132, v82
	v_lshlrev_b32_e64 v144, v132, 0x100000
	v_add_nc_u32_e32 v132, v132, v20
	s_delay_alu instid0(VALU_DEP_4) | instskip(NEXT) | instid1(VALU_DEP_4)
	v_and_b32_e32 v82, v133, v82
	v_bfe_u32 v135, v134, 21, 1
	s_delay_alu instid0(VALU_DEP_2) | instskip(NEXT) | instid1(VALU_DEP_2)
	v_cmp_eq_u32_e64 s8, v82, v144
	v_add_nc_u32_e32 v133, -1, v135
	s_delay_alu instid0(VALU_DEP_1) | instskip(SKIP_2) | instid1(VALU_DEP_2)
	v_cndmask_b32_e64 v82, 0, v133, s8
	v_lshrrev_b32_e32 v133, 23, v134
	s_mov_b32 s8, exec_lo
	v_add_nc_u32_e32 v82, v82, v134
	s_delay_alu instid0(VALU_DEP_2) | instskip(NEXT) | instid1(VALU_DEP_2)
	v_xor_b32_e32 v133, 1, v133
	v_and_b32_e32 v20, 0x1fffff, v82
	s_delay_alu instid0(VALU_DEP_1) | instskip(NEXT) | instid1(VALU_DEP_3)
	v_add_nc_u32_e32 v82, v20, v134
                                        ; implicit-def: $vgpr20
	v_cmpx_ne_u32_e64 v132, v133
	s_xor_b32 s8, exec_lo, s8
; %bb.571:                              ;   in Loop: Header=BB4_530 Depth=2
	s_delay_alu instid0(VALU_DEP_2) | instskip(SKIP_2) | instid1(VALU_DEP_2)
	v_cmp_lt_u32_e32 vcc_lo, 0xffffff, v82
	v_sub_nc_u32_e32 v20, v132, v133
	v_cndmask_b32_e64 v132, 0, 1, vcc_lo
	v_add_co_ci_u32_e32 v20, vcc_lo, 0, v20, vcc_lo
	s_delay_alu instid0(VALU_DEP_2)
	v_lshrrev_b32_e32 v82, v132, v82
; %bb.572:                              ;   in Loop: Header=BB4_530 Depth=2
	s_and_not1_saveexec_b32 s8, s8
; %bb.573:                              ;   in Loop: Header=BB4_530 Depth=2
	s_delay_alu instid0(VALU_DEP_1)
	v_bfe_u32 v20, v82, 23, 1
; %bb.574:                              ;   in Loop: Header=BB4_530 Depth=2
	s_or_b32 exec_lo, exec_lo, s8
	v_lshrrev_b32_e32 v82, 21, v82
	s_delay_alu instid0(VALU_DEP_2) | instskip(SKIP_2) | instid1(VALU_DEP_2)
	v_cmp_gt_i32_e32 vcc_lo, 32, v20
	v_lshrrev_b32_e32 v81, 24, v81
	v_min_i32_e32 v132, 31, v20
	v_dual_cndmask_b32 v82, 3, v82 :: v_dual_and_b32 v81, 0x80, v81
	s_delay_alu instid0(VALU_DEP_2) | instskip(NEXT) | instid1(VALU_DEP_2)
	v_lshlrev_b32_e32 v132, 2, v132
	v_or_b32_e32 v20, v20, v82
	s_delay_alu instid0(VALU_DEP_1) | instskip(SKIP_1) | instid1(VALU_DEP_1)
	v_cmp_ne_u32_e32 vcc_lo, 0, v20
	v_and_b32_e32 v133, 3, v82
	v_or3_b32 v81, v132, v81, v133
	s_delay_alu instid0(VALU_DEP_1)
	v_cndmask_b32_e32 v20, 0, v81, vcc_lo
.LBB4_575:                              ;   in Loop: Header=BB4_530 Depth=2
	s_or_b32 exec_lo, exec_lo, s19
.LBB4_576:                              ;   in Loop: Header=BB4_530 Depth=2
	s_delay_alu instid0(SALU_CYCLE_1) | instskip(SKIP_3) | instid1(SALU_CYCLE_1)
	s_or_b32 exec_lo, exec_lo, s9
	v_lshrrev_b16 v82, 8, v17
	v_lshrrev_b16 v81, 8, v97
                                        ; implicit-def: $vgpr132
	s_and_saveexec_b32 s8, s6
	s_xor_b32 s8, exec_lo, s8
	s_cbranch_execz .LBB4_586
; %bb.577:                              ;   in Loop: Header=BB4_530 Depth=2
	s_mov_b32 s9, 0
	s_mov_b32 s20, exec_lo
                                        ; implicit-def: $sgpr19
	v_cmpx_lt_i16_e32 0x7f, v82
	s_xor_b32 s20, exec_lo, s20
	s_cbranch_execnz .LBB4_806
; %bb.578:                              ;   in Loop: Header=BB4_530 Depth=2
	s_or_saveexec_b32 s20, s20
	v_mov_b32_e32 v132, s19
	s_xor_b32 exec_lo, exec_lo, s20
	s_cbranch_execnz .LBB4_809
.LBB4_579:                              ;   in Loop: Header=BB4_530 Depth=2
	s_or_b32 exec_lo, exec_lo, s20
	s_and_saveexec_b32 s19, s9
	s_cbranch_execz .LBB4_581
.LBB4_580:                              ;   in Loop: Header=BB4_530 Depth=2
	v_and_b32_e32 v82, 0xffff, v82
	s_delay_alu instid0(VALU_DEP_1) | instskip(NEXT) | instid1(VALU_DEP_1)
	v_and_b32_e32 v132, 3, v82
	v_clz_i32_u32_e32 v133, v132
	s_delay_alu instid0(VALU_DEP_1) | instskip(NEXT) | instid1(VALU_DEP_1)
	v_min_u32_e32 v133, 32, v133
	v_subrev_nc_u32_e32 v134, 29, v133
	v_sub_nc_u32_e32 v133, 30, v133
	s_delay_alu instid0(VALU_DEP_2) | instskip(SKIP_1) | instid1(VALU_DEP_2)
	v_lshlrev_b32_e32 v134, v134, v82
	v_bfe_u32 v82, v82, 2, 5
	v_and_b32_e32 v134, 3, v134
	s_delay_alu instid0(VALU_DEP_2) | instskip(NEXT) | instid1(VALU_DEP_2)
	v_cmp_eq_u32_e32 vcc_lo, 0, v82
	v_dual_cndmask_b32 v132, v132, v134 :: v_dual_lshlrev_b32 v135, 16, v17
	s_delay_alu instid0(VALU_DEP_1) | instskip(NEXT) | instid1(VALU_DEP_2)
	v_dual_cndmask_b32 v82, v82, v133 :: v_dual_and_b32 v133, 0x80000000, v135
	v_lshlrev_b32_e32 v132, 21, v132
	s_delay_alu instid0(VALU_DEP_2) | instskip(NEXT) | instid1(VALU_DEP_1)
	v_lshl_add_u32 v82, v82, 23, 0x37800000
	v_or3_b32 v132, v133, v82, v132
.LBB4_581:                              ;   in Loop: Header=BB4_530 Depth=2
	s_or_b32 exec_lo, exec_lo, s19
	s_mov_b32 s9, 0
	s_mov_b32 s20, exec_lo
                                        ; implicit-def: $sgpr19
	v_cmpx_lt_i16_e32 0x7f, v81
	s_xor_b32 s20, exec_lo, s20
	s_cbranch_execnz .LBB4_810
; %bb.582:                              ;   in Loop: Header=BB4_530 Depth=2
	s_or_saveexec_b32 s20, s20
	v_mov_b32_e32 v82, s19
	s_xor_b32 exec_lo, exec_lo, s20
	s_cbranch_execnz .LBB4_813
.LBB4_583:                              ;   in Loop: Header=BB4_530 Depth=2
	s_or_b32 exec_lo, exec_lo, s20
	s_and_saveexec_b32 s19, s9
	s_cbranch_execz .LBB4_585
.LBB4_584:                              ;   in Loop: Header=BB4_530 Depth=2
	v_and_b32_e32 v81, 0xffff, v81
	v_lshlrev_b32_e32 v135, 16, v97
	s_delay_alu instid0(VALU_DEP_2) | instskip(NEXT) | instid1(VALU_DEP_1)
	v_and_b32_e32 v82, 3, v81
	v_clz_i32_u32_e32 v133, v82
	s_delay_alu instid0(VALU_DEP_1) | instskip(NEXT) | instid1(VALU_DEP_1)
	v_min_u32_e32 v133, 32, v133
	v_subrev_nc_u32_e32 v134, 29, v133
	v_sub_nc_u32_e32 v133, 30, v133
	s_delay_alu instid0(VALU_DEP_2) | instskip(SKIP_1) | instid1(VALU_DEP_1)
	v_lshlrev_b32_e32 v134, v134, v81
	v_bfe_u32 v81, v81, 2, 5
	v_cmp_eq_u32_e32 vcc_lo, 0, v81
	s_delay_alu instid0(VALU_DEP_3) | instskip(NEXT) | instid1(VALU_DEP_1)
	v_dual_cndmask_b32 v81, v81, v133 :: v_dual_and_b32 v134, 3, v134
	v_dual_cndmask_b32 v82, v82, v134 :: v_dual_and_b32 v133, 0x80000000, v135
	s_delay_alu instid0(VALU_DEP_2) | instskip(NEXT) | instid1(VALU_DEP_2)
	v_lshl_add_u32 v81, v81, 23, 0x37800000
	v_lshlrev_b32_e32 v82, 21, v82
	s_delay_alu instid0(VALU_DEP_1)
	v_or3_b32 v82, v133, v81, v82
.LBB4_585:                              ;   in Loop: Header=BB4_530 Depth=2
	s_or_b32 exec_lo, exec_lo, s19
	s_delay_alu instid0(VALU_DEP_1) | instskip(NEXT) | instid1(VALU_DEP_1)
	v_dual_max_f32 v81, v82, v82 :: v_dual_max_f32 v82, v132, v132
	v_max_f32_e32 v132, v82, v81
                                        ; implicit-def: $vgpr81
                                        ; implicit-def: $vgpr82
.LBB4_586:                              ;   in Loop: Header=BB4_530 Depth=2
	s_and_not1_saveexec_b32 s8, s8
	s_cbranch_execz .LBB4_596
; %bb.587:                              ;   in Loop: Header=BB4_530 Depth=2
	s_mov_b32 s9, 0
	s_mov_b32 s20, exec_lo
                                        ; implicit-def: $sgpr19
	v_cmpx_lt_i16_e32 0x7f, v82
	s_xor_b32 s20, exec_lo, s20
	s_cbranch_execnz .LBB4_814
; %bb.588:                              ;   in Loop: Header=BB4_530 Depth=2
	s_or_saveexec_b32 s20, s20
	v_mov_b32_e32 v132, s19
	s_xor_b32 exec_lo, exec_lo, s20
	s_cbranch_execnz .LBB4_817
.LBB4_589:                              ;   in Loop: Header=BB4_530 Depth=2
	s_or_b32 exec_lo, exec_lo, s20
	s_and_saveexec_b32 s19, s9
	s_cbranch_execz .LBB4_591
.LBB4_590:                              ;   in Loop: Header=BB4_530 Depth=2
	v_and_b32_e32 v82, 0xffff, v82
	s_delay_alu instid0(VALU_DEP_1) | instskip(NEXT) | instid1(VALU_DEP_1)
	v_and_b32_e32 v132, 3, v82
	v_clz_i32_u32_e32 v133, v132
	s_delay_alu instid0(VALU_DEP_1) | instskip(NEXT) | instid1(VALU_DEP_1)
	v_min_u32_e32 v133, 32, v133
	v_subrev_nc_u32_e32 v134, 29, v133
	v_sub_nc_u32_e32 v133, 30, v133
	s_delay_alu instid0(VALU_DEP_2) | instskip(SKIP_1) | instid1(VALU_DEP_2)
	v_lshlrev_b32_e32 v134, v134, v82
	v_bfe_u32 v82, v82, 2, 5
	v_and_b32_e32 v134, 3, v134
	s_delay_alu instid0(VALU_DEP_2) | instskip(NEXT) | instid1(VALU_DEP_2)
	v_cmp_eq_u32_e32 vcc_lo, 0, v82
	v_dual_cndmask_b32 v132, v132, v134 :: v_dual_lshlrev_b32 v135, 16, v17
	s_delay_alu instid0(VALU_DEP_1) | instskip(NEXT) | instid1(VALU_DEP_2)
	v_dual_cndmask_b32 v82, v82, v133 :: v_dual_and_b32 v133, 0x80000000, v135
	v_lshlrev_b32_e32 v132, 21, v132
	s_delay_alu instid0(VALU_DEP_2) | instskip(NEXT) | instid1(VALU_DEP_1)
	v_lshl_add_u32 v82, v82, 23, 0x37800000
	v_or3_b32 v132, v133, v82, v132
.LBB4_591:                              ;   in Loop: Header=BB4_530 Depth=2
	s_or_b32 exec_lo, exec_lo, s19
	s_mov_b32 s9, 0
	s_mov_b32 s20, exec_lo
                                        ; implicit-def: $sgpr19
	v_cmpx_lt_i16_e32 0x7f, v81
	s_xor_b32 s20, exec_lo, s20
	s_cbranch_execnz .LBB4_818
; %bb.592:                              ;   in Loop: Header=BB4_530 Depth=2
	s_or_saveexec_b32 s20, s20
	v_mov_b32_e32 v82, s19
	s_xor_b32 exec_lo, exec_lo, s20
	s_cbranch_execnz .LBB4_821
.LBB4_593:                              ;   in Loop: Header=BB4_530 Depth=2
	s_or_b32 exec_lo, exec_lo, s20
	s_and_saveexec_b32 s19, s9
	s_cbranch_execz .LBB4_595
.LBB4_594:                              ;   in Loop: Header=BB4_530 Depth=2
	v_and_b32_e32 v81, 0xffff, v81
	v_lshlrev_b32_e32 v135, 16, v97
	s_delay_alu instid0(VALU_DEP_2) | instskip(NEXT) | instid1(VALU_DEP_1)
	v_and_b32_e32 v82, 3, v81
	v_clz_i32_u32_e32 v133, v82
	s_delay_alu instid0(VALU_DEP_1) | instskip(NEXT) | instid1(VALU_DEP_1)
	v_min_u32_e32 v133, 32, v133
	v_subrev_nc_u32_e32 v134, 29, v133
	v_sub_nc_u32_e32 v133, 30, v133
	s_delay_alu instid0(VALU_DEP_2) | instskip(SKIP_1) | instid1(VALU_DEP_1)
	v_lshlrev_b32_e32 v134, v134, v81
	v_bfe_u32 v81, v81, 2, 5
	v_cmp_eq_u32_e32 vcc_lo, 0, v81
	s_delay_alu instid0(VALU_DEP_3) | instskip(NEXT) | instid1(VALU_DEP_1)
	v_dual_cndmask_b32 v81, v81, v133 :: v_dual_and_b32 v134, 3, v134
	v_dual_cndmask_b32 v82, v82, v134 :: v_dual_and_b32 v133, 0x80000000, v135
	s_delay_alu instid0(VALU_DEP_2) | instskip(NEXT) | instid1(VALU_DEP_2)
	v_lshl_add_u32 v81, v81, 23, 0x37800000
	v_lshlrev_b32_e32 v82, 21, v82
	s_delay_alu instid0(VALU_DEP_1)
	v_or3_b32 v82, v133, v81, v82
.LBB4_595:                              ;   in Loop: Header=BB4_530 Depth=2
	s_or_b32 exec_lo, exec_lo, s19
	s_delay_alu instid0(VALU_DEP_1) | instskip(NEXT) | instid1(VALU_DEP_1)
	v_dual_max_f32 v81, v82, v82 :: v_dual_max_f32 v82, v132, v132
	v_min_f32_e32 v132, v82, v81
.LBB4_596:                              ;   in Loop: Header=BB4_530 Depth=2
	s_or_b32 exec_lo, exec_lo, s8
	s_delay_alu instid0(VALU_DEP_1) | instskip(NEXT) | instid1(VALU_DEP_1)
	v_and_b32_e32 v81, 0x7f800000, v132
	v_cmp_ne_u32_e32 vcc_lo, 0x7f800000, v81
	v_mov_b32_e32 v81, 0x80
	s_and_saveexec_b32 s9, vcc_lo
	s_cbranch_execz .LBB4_604
; %bb.597:                              ;   in Loop: Header=BB4_530 Depth=2
	v_mov_b32_e32 v81, 0
	s_mov_b32 s19, exec_lo
	v_cmpx_ne_u32_e32 0, v132
	s_cbranch_execz .LBB4_603
; %bb.598:                              ;   in Loop: Header=BB4_530 Depth=2
	v_bfe_u32 v81, v132, 23, 8
	s_delay_alu instid0(VALU_DEP_1) | instskip(SKIP_1) | instid1(VALU_DEP_2)
	v_sub_nc_u32_e32 v133, 0x70, v81
	v_cmp_gt_u32_e32 vcc_lo, 0x71, v81
	v_dual_cndmask_b32 v133, 0, v133 :: v_dual_and_b32 v82, 0x7fffff, v132
	s_delay_alu instid0(VALU_DEP_1) | instskip(SKIP_2) | instid1(VALU_DEP_4)
	v_or_b32_e32 v134, 0x800000, v82
	v_cmp_eq_u32_e32 vcc_lo, 0, v81
	v_add_nc_u32_e32 v81, 0xffffff91, v81
	v_cndmask_b32_e64 v133, v133, 0x6f, vcc_lo
	s_delay_alu instid0(VALU_DEP_4) | instskip(NEXT) | instid1(VALU_DEP_3)
	v_cndmask_b32_e32 v82, v134, v82, vcc_lo
	v_cndmask_b32_e64 v81, v81, 0xffffff92, vcc_lo
	s_delay_alu instid0(VALU_DEP_3) | instskip(NEXT) | instid1(VALU_DEP_3)
	v_lshl_add_u32 v134, 0x200000, v133, -1
	v_lshrrev_b32_e32 v135, v133, v82
	v_lshlrev_b32_e64 v145, v133, 0x100000
	s_delay_alu instid0(VALU_DEP_4) | instskip(NEXT) | instid1(VALU_DEP_4)
	v_add_nc_u32_e32 v133, v133, v81
	v_and_b32_e32 v82, v134, v82
	s_delay_alu instid0(VALU_DEP_4) | instskip(NEXT) | instid1(VALU_DEP_2)
	v_bfe_u32 v144, v135, 21, 1
	v_cmp_eq_u32_e64 s8, v82, v145
	s_delay_alu instid0(VALU_DEP_2) | instskip(NEXT) | instid1(VALU_DEP_1)
	v_add_nc_u32_e32 v134, -1, v144
	v_cndmask_b32_e64 v82, 0, v134, s8
	v_lshrrev_b32_e32 v134, 23, v135
	s_mov_b32 s8, exec_lo
	s_delay_alu instid0(VALU_DEP_2) | instskip(NEXT) | instid1(VALU_DEP_2)
	v_add_nc_u32_e32 v82, v82, v135
	v_xor_b32_e32 v134, 1, v134
	s_delay_alu instid0(VALU_DEP_2) | instskip(NEXT) | instid1(VALU_DEP_1)
	v_and_b32_e32 v81, 0x1fffff, v82
	v_add_nc_u32_e32 v82, v81, v135
                                        ; implicit-def: $vgpr81
	s_delay_alu instid0(VALU_DEP_3)
	v_cmpx_ne_u32_e64 v133, v134
	s_xor_b32 s8, exec_lo, s8
; %bb.599:                              ;   in Loop: Header=BB4_530 Depth=2
	s_delay_alu instid0(VALU_DEP_2) | instskip(SKIP_2) | instid1(VALU_DEP_2)
	v_cmp_lt_u32_e32 vcc_lo, 0xffffff, v82
	v_sub_nc_u32_e32 v81, v133, v134
	v_cndmask_b32_e64 v133, 0, 1, vcc_lo
	v_add_co_ci_u32_e32 v81, vcc_lo, 0, v81, vcc_lo
	s_delay_alu instid0(VALU_DEP_2)
	v_lshrrev_b32_e32 v82, v133, v82
; %bb.600:                              ;   in Loop: Header=BB4_530 Depth=2
	s_and_not1_saveexec_b32 s8, s8
; %bb.601:                              ;   in Loop: Header=BB4_530 Depth=2
	s_delay_alu instid0(VALU_DEP_1)
	v_bfe_u32 v81, v82, 23, 1
; %bb.602:                              ;   in Loop: Header=BB4_530 Depth=2
	s_or_b32 exec_lo, exec_lo, s8
	v_lshrrev_b32_e32 v82, 21, v82
	s_delay_alu instid0(VALU_DEP_2) | instskip(SKIP_2) | instid1(VALU_DEP_2)
	v_cmp_gt_i32_e32 vcc_lo, 32, v81
	v_min_i32_e32 v133, 31, v81
	v_lshrrev_b32_e32 v132, 24, v132
	v_dual_cndmask_b32 v82, 3, v82 :: v_dual_lshlrev_b32 v133, 2, v133
	s_delay_alu instid0(VALU_DEP_1) | instskip(SKIP_1) | instid1(VALU_DEP_2)
	v_or_b32_e32 v81, v81, v82
	v_and_b32_e32 v134, 3, v82
	v_cmp_ne_u32_e32 vcc_lo, 0, v81
	v_and_b32_e32 v132, 0x80, v132
	s_delay_alu instid0(VALU_DEP_1) | instskip(NEXT) | instid1(VALU_DEP_1)
	v_or3_b32 v82, v133, v132, v134
	v_cndmask_b32_e32 v81, 0, v82, vcc_lo
.LBB4_603:                              ;   in Loop: Header=BB4_530 Depth=2
	s_or_b32 exec_lo, exec_lo, s19
.LBB4_604:                              ;   in Loop: Header=BB4_530 Depth=2
	s_delay_alu instid0(SALU_CYCLE_1) | instskip(SKIP_3) | instid1(SALU_CYCLE_1)
	s_or_b32 exec_lo, exec_lo, s9
	v_lshrrev_b32_e32 v132, 16, v17
	v_lshrrev_b32_e32 v82, 16, v97
                                        ; implicit-def: $vgpr133
	s_and_saveexec_b32 s8, s6
	s_xor_b32 s8, exec_lo, s8
	s_cbranch_execz .LBB4_614
; %bb.605:                              ;   in Loop: Header=BB4_530 Depth=2
	v_and_b32_e32 v134, 0xff, v132
	s_mov_b32 s9, 0
	s_mov_b32 s20, exec_lo
                                        ; implicit-def: $sgpr19
	s_delay_alu instid0(VALU_DEP_1)
	v_cmpx_lt_i16_e64 0x7f, v134
	s_xor_b32 s20, exec_lo, s20
	s_cbranch_execnz .LBB4_822
; %bb.606:                              ;   in Loop: Header=BB4_530 Depth=2
	s_or_saveexec_b32 s20, s20
	v_mov_b32_e32 v133, s19
	s_xor_b32 exec_lo, exec_lo, s20
	s_cbranch_execnz .LBB4_825
.LBB4_607:                              ;   in Loop: Header=BB4_530 Depth=2
	s_or_b32 exec_lo, exec_lo, s20
	s_and_saveexec_b32 s19, s9
	s_cbranch_execz .LBB4_609
.LBB4_608:                              ;   in Loop: Header=BB4_530 Depth=2
	v_bfe_u32 v133, v17, 16, 2
	v_bfe_u32 v144, v17, 18, 5
	s_delay_alu instid0(VALU_DEP_2) | instskip(NEXT) | instid1(VALU_DEP_2)
	v_clz_i32_u32_e32 v134, v133
	v_cmp_eq_u32_e32 vcc_lo, 0, v144
	s_delay_alu instid0(VALU_DEP_2) | instskip(NEXT) | instid1(VALU_DEP_1)
	v_min_u32_e32 v134, 32, v134
	v_subrev_nc_u32_e32 v135, 29, v134
	v_sub_nc_u32_e32 v134, 30, v134
	s_delay_alu instid0(VALU_DEP_1) | instskip(NEXT) | instid1(VALU_DEP_1)
	v_dual_cndmask_b32 v134, v144, v134 :: v_dual_lshlrev_b32 v135, v135, v132
	v_and_b32_e32 v135, 3, v135
	v_lshlrev_b32_e32 v132, 24, v132
	s_delay_alu instid0(VALU_DEP_3) | instskip(NEXT) | instid1(VALU_DEP_2)
	v_lshl_add_u32 v134, v134, 23, 0x37800000
	v_dual_cndmask_b32 v133, v133, v135 :: v_dual_and_b32 v132, 0x80000000, v132
	s_delay_alu instid0(VALU_DEP_1) | instskip(NEXT) | instid1(VALU_DEP_1)
	v_lshlrev_b32_e32 v133, 21, v133
	v_or3_b32 v133, v132, v134, v133
.LBB4_609:                              ;   in Loop: Header=BB4_530 Depth=2
	s_or_b32 exec_lo, exec_lo, s19
	v_and_b32_e32 v134, 0xff, v82
	s_mov_b32 s9, 0
	s_mov_b32 s20, exec_lo
                                        ; implicit-def: $sgpr19
	s_delay_alu instid0(VALU_DEP_1)
	v_cmpx_lt_i16_e64 0x7f, v134
	s_xor_b32 s20, exec_lo, s20
	s_cbranch_execnz .LBB4_826
; %bb.610:                              ;   in Loop: Header=BB4_530 Depth=2
	s_or_saveexec_b32 s20, s20
	v_mov_b32_e32 v132, s19
	s_xor_b32 exec_lo, exec_lo, s20
	s_cbranch_execnz .LBB4_829
.LBB4_611:                              ;   in Loop: Header=BB4_530 Depth=2
	s_or_b32 exec_lo, exec_lo, s20
	s_and_saveexec_b32 s19, s9
	s_cbranch_execz .LBB4_613
.LBB4_612:                              ;   in Loop: Header=BB4_530 Depth=2
	v_bfe_u32 v132, v97, 16, 2
	v_bfe_u32 v144, v97, 18, 5
	s_delay_alu instid0(VALU_DEP_2) | instskip(NEXT) | instid1(VALU_DEP_2)
	v_clz_i32_u32_e32 v134, v132
	v_cmp_eq_u32_e32 vcc_lo, 0, v144
	s_delay_alu instid0(VALU_DEP_2) | instskip(NEXT) | instid1(VALU_DEP_1)
	v_min_u32_e32 v134, 32, v134
	v_subrev_nc_u32_e32 v135, 29, v134
	v_sub_nc_u32_e32 v134, 30, v134
	s_delay_alu instid0(VALU_DEP_2) | instskip(SKIP_1) | instid1(VALU_DEP_2)
	v_lshlrev_b32_e32 v135, v135, v82
	v_lshlrev_b32_e32 v82, 24, v82
	v_dual_cndmask_b32 v134, v144, v134 :: v_dual_and_b32 v135, 3, v135
	s_delay_alu instid0(VALU_DEP_2) | instskip(NEXT) | instid1(VALU_DEP_2)
	v_and_b32_e32 v82, 0x80000000, v82
	v_lshl_add_u32 v134, v134, 23, 0x37800000
	s_delay_alu instid0(VALU_DEP_3) | instskip(NEXT) | instid1(VALU_DEP_1)
	v_cndmask_b32_e32 v132, v132, v135, vcc_lo
	v_lshlrev_b32_e32 v132, 21, v132
	s_delay_alu instid0(VALU_DEP_1)
	v_or3_b32 v132, v82, v134, v132
.LBB4_613:                              ;   in Loop: Header=BB4_530 Depth=2
	s_or_b32 exec_lo, exec_lo, s19
	s_delay_alu instid0(VALU_DEP_1) | instskip(SKIP_1) | instid1(VALU_DEP_1)
	v_max_f32_e32 v82, v132, v132
	v_max_f32_e32 v132, v133, v133
	;; [unrolled: 1-line block ×3, first 2 shown]
                                        ; implicit-def: $vgpr82
                                        ; implicit-def: $vgpr132
.LBB4_614:                              ;   in Loop: Header=BB4_530 Depth=2
	s_and_not1_saveexec_b32 s8, s8
	s_cbranch_execz .LBB4_624
; %bb.615:                              ;   in Loop: Header=BB4_530 Depth=2
	v_and_b32_e32 v134, 0xff, v132
	s_mov_b32 s9, 0
	s_mov_b32 s20, exec_lo
                                        ; implicit-def: $sgpr19
	s_delay_alu instid0(VALU_DEP_1)
	v_cmpx_lt_i16_e64 0x7f, v134
	s_xor_b32 s20, exec_lo, s20
	s_cbranch_execnz .LBB4_830
; %bb.616:                              ;   in Loop: Header=BB4_530 Depth=2
	s_or_saveexec_b32 s20, s20
	v_mov_b32_e32 v133, s19
	s_xor_b32 exec_lo, exec_lo, s20
	s_cbranch_execnz .LBB4_833
.LBB4_617:                              ;   in Loop: Header=BB4_530 Depth=2
	s_or_b32 exec_lo, exec_lo, s20
	s_and_saveexec_b32 s19, s9
	s_cbranch_execz .LBB4_619
.LBB4_618:                              ;   in Loop: Header=BB4_530 Depth=2
	v_bfe_u32 v133, v17, 16, 2
	v_bfe_u32 v144, v17, 18, 5
	s_delay_alu instid0(VALU_DEP_2) | instskip(NEXT) | instid1(VALU_DEP_2)
	v_clz_i32_u32_e32 v134, v133
	v_cmp_eq_u32_e32 vcc_lo, 0, v144
	s_delay_alu instid0(VALU_DEP_2) | instskip(NEXT) | instid1(VALU_DEP_1)
	v_min_u32_e32 v134, 32, v134
	v_subrev_nc_u32_e32 v135, 29, v134
	v_sub_nc_u32_e32 v134, 30, v134
	s_delay_alu instid0(VALU_DEP_1) | instskip(NEXT) | instid1(VALU_DEP_1)
	v_dual_cndmask_b32 v134, v144, v134 :: v_dual_lshlrev_b32 v135, v135, v132
	v_and_b32_e32 v135, 3, v135
	v_lshlrev_b32_e32 v132, 24, v132
	s_delay_alu instid0(VALU_DEP_3) | instskip(NEXT) | instid1(VALU_DEP_2)
	v_lshl_add_u32 v134, v134, 23, 0x37800000
	v_dual_cndmask_b32 v133, v133, v135 :: v_dual_and_b32 v132, 0x80000000, v132
	s_delay_alu instid0(VALU_DEP_1) | instskip(NEXT) | instid1(VALU_DEP_1)
	v_lshlrev_b32_e32 v133, 21, v133
	v_or3_b32 v133, v132, v134, v133
.LBB4_619:                              ;   in Loop: Header=BB4_530 Depth=2
	s_or_b32 exec_lo, exec_lo, s19
	v_and_b32_e32 v134, 0xff, v82
	s_mov_b32 s9, 0
	s_mov_b32 s20, exec_lo
                                        ; implicit-def: $sgpr19
	s_delay_alu instid0(VALU_DEP_1)
	v_cmpx_lt_i16_e64 0x7f, v134
	s_xor_b32 s20, exec_lo, s20
	s_cbranch_execnz .LBB4_834
; %bb.620:                              ;   in Loop: Header=BB4_530 Depth=2
	s_or_saveexec_b32 s20, s20
	v_mov_b32_e32 v132, s19
	s_xor_b32 exec_lo, exec_lo, s20
	s_cbranch_execnz .LBB4_837
.LBB4_621:                              ;   in Loop: Header=BB4_530 Depth=2
	s_or_b32 exec_lo, exec_lo, s20
	s_and_saveexec_b32 s19, s9
	s_cbranch_execz .LBB4_623
.LBB4_622:                              ;   in Loop: Header=BB4_530 Depth=2
	v_bfe_u32 v132, v97, 16, 2
	v_bfe_u32 v144, v97, 18, 5
	s_delay_alu instid0(VALU_DEP_2) | instskip(NEXT) | instid1(VALU_DEP_2)
	v_clz_i32_u32_e32 v134, v132
	v_cmp_eq_u32_e32 vcc_lo, 0, v144
	s_delay_alu instid0(VALU_DEP_2) | instskip(NEXT) | instid1(VALU_DEP_1)
	v_min_u32_e32 v134, 32, v134
	v_subrev_nc_u32_e32 v135, 29, v134
	v_sub_nc_u32_e32 v134, 30, v134
	s_delay_alu instid0(VALU_DEP_2) | instskip(SKIP_1) | instid1(VALU_DEP_2)
	v_lshlrev_b32_e32 v135, v135, v82
	v_lshlrev_b32_e32 v82, 24, v82
	v_dual_cndmask_b32 v134, v144, v134 :: v_dual_and_b32 v135, 3, v135
	s_delay_alu instid0(VALU_DEP_2) | instskip(NEXT) | instid1(VALU_DEP_2)
	v_and_b32_e32 v82, 0x80000000, v82
	v_lshl_add_u32 v134, v134, 23, 0x37800000
	s_delay_alu instid0(VALU_DEP_3) | instskip(NEXT) | instid1(VALU_DEP_1)
	v_cndmask_b32_e32 v132, v132, v135, vcc_lo
	v_lshlrev_b32_e32 v132, 21, v132
	s_delay_alu instid0(VALU_DEP_1)
	v_or3_b32 v132, v82, v134, v132
.LBB4_623:                              ;   in Loop: Header=BB4_530 Depth=2
	s_or_b32 exec_lo, exec_lo, s19
	s_delay_alu instid0(VALU_DEP_1) | instskip(SKIP_1) | instid1(VALU_DEP_1)
	v_max_f32_e32 v82, v132, v132
	v_max_f32_e32 v132, v133, v133
	v_min_f32_e32 v133, v132, v82
.LBB4_624:                              ;   in Loop: Header=BB4_530 Depth=2
	s_or_b32 exec_lo, exec_lo, s8
	s_delay_alu instid0(VALU_DEP_1) | instskip(NEXT) | instid1(VALU_DEP_1)
	v_and_b32_e32 v82, 0x7f800000, v133
	v_cmp_ne_u32_e32 vcc_lo, 0x7f800000, v82
	v_mov_b32_e32 v82, 0x80
	s_and_saveexec_b32 s9, vcc_lo
	s_cbranch_execz .LBB4_632
; %bb.625:                              ;   in Loop: Header=BB4_530 Depth=2
	v_mov_b32_e32 v82, 0
	s_mov_b32 s19, exec_lo
	v_cmpx_ne_u32_e32 0, v133
	s_cbranch_execz .LBB4_631
; %bb.626:                              ;   in Loop: Header=BB4_530 Depth=2
	v_bfe_u32 v82, v133, 23, 8
	v_and_b32_e32 v132, 0x7fffff, v133
	s_delay_alu instid0(VALU_DEP_2) | instskip(SKIP_1) | instid1(VALU_DEP_3)
	v_sub_nc_u32_e32 v134, 0x70, v82
	v_cmp_gt_u32_e32 vcc_lo, 0x71, v82
	v_or_b32_e32 v135, 0x800000, v132
	s_delay_alu instid0(VALU_DEP_3) | instskip(SKIP_2) | instid1(VALU_DEP_3)
	v_cndmask_b32_e32 v134, 0, v134, vcc_lo
	v_cmp_eq_u32_e32 vcc_lo, 0, v82
	v_add_nc_u32_e32 v82, 0xffffff91, v82
	v_cndmask_b32_e64 v134, v134, 0x6f, vcc_lo
	v_cndmask_b32_e32 v132, v135, v132, vcc_lo
	s_delay_alu instid0(VALU_DEP_3) | instskip(NEXT) | instid1(VALU_DEP_3)
	v_cndmask_b32_e64 v82, v82, 0xffffff92, vcc_lo
	v_lshl_add_u32 v135, 0x200000, v134, -1
	s_delay_alu instid0(VALU_DEP_3) | instskip(SKIP_1) | instid1(VALU_DEP_4)
	v_lshrrev_b32_e32 v144, v134, v132
	v_lshlrev_b32_e64 v146, v134, 0x100000
	v_add_nc_u32_e32 v134, v134, v82
	s_delay_alu instid0(VALU_DEP_4) | instskip(NEXT) | instid1(VALU_DEP_4)
	v_and_b32_e32 v132, v135, v132
	v_bfe_u32 v145, v144, 21, 1
	s_delay_alu instid0(VALU_DEP_2) | instskip(NEXT) | instid1(VALU_DEP_2)
	v_cmp_eq_u32_e64 s8, v132, v146
	v_add_nc_u32_e32 v135, -1, v145
	s_delay_alu instid0(VALU_DEP_1) | instskip(SKIP_2) | instid1(VALU_DEP_2)
	v_cndmask_b32_e64 v132, 0, v135, s8
	v_lshrrev_b32_e32 v135, 23, v144
	s_mov_b32 s8, exec_lo
	v_add_nc_u32_e32 v132, v132, v144
	s_delay_alu instid0(VALU_DEP_2) | instskip(NEXT) | instid1(VALU_DEP_2)
	v_xor_b32_e32 v135, 1, v135
	v_and_b32_e32 v82, 0x1fffff, v132
	s_delay_alu instid0(VALU_DEP_1) | instskip(NEXT) | instid1(VALU_DEP_3)
	v_add_nc_u32_e32 v132, v82, v144
                                        ; implicit-def: $vgpr82
	v_cmpx_ne_u32_e64 v134, v135
	s_xor_b32 s8, exec_lo, s8
; %bb.627:                              ;   in Loop: Header=BB4_530 Depth=2
	s_delay_alu instid0(VALU_DEP_2) | instskip(SKIP_2) | instid1(VALU_DEP_2)
	v_cmp_lt_u32_e32 vcc_lo, 0xffffff, v132
	v_sub_nc_u32_e32 v82, v134, v135
	v_cndmask_b32_e64 v134, 0, 1, vcc_lo
	v_add_co_ci_u32_e32 v82, vcc_lo, 0, v82, vcc_lo
	s_delay_alu instid0(VALU_DEP_2)
	v_lshrrev_b32_e32 v132, v134, v132
; %bb.628:                              ;   in Loop: Header=BB4_530 Depth=2
	s_and_not1_saveexec_b32 s8, s8
; %bb.629:                              ;   in Loop: Header=BB4_530 Depth=2
	s_delay_alu instid0(VALU_DEP_1)
	v_bfe_u32 v82, v132, 23, 1
; %bb.630:                              ;   in Loop: Header=BB4_530 Depth=2
	s_or_b32 exec_lo, exec_lo, s8
	v_lshrrev_b32_e32 v132, 21, v132
	s_delay_alu instid0(VALU_DEP_2) | instskip(SKIP_2) | instid1(VALU_DEP_2)
	v_cmp_gt_i32_e32 vcc_lo, 32, v82
	v_lshrrev_b32_e32 v133, 24, v133
	v_min_i32_e32 v134, 31, v82
	v_dual_cndmask_b32 v132, 3, v132 :: v_dual_and_b32 v133, 0x80, v133
	s_delay_alu instid0(VALU_DEP_2) | instskip(NEXT) | instid1(VALU_DEP_2)
	v_lshlrev_b32_e32 v134, 2, v134
	v_and_b32_e32 v135, 3, v132
	v_or_b32_e32 v82, v82, v132
	s_delay_alu instid0(VALU_DEP_2) | instskip(NEXT) | instid1(VALU_DEP_2)
	v_or3_b32 v132, v134, v133, v135
	v_cmp_ne_u32_e32 vcc_lo, 0, v82
	s_delay_alu instid0(VALU_DEP_2)
	v_cndmask_b32_e32 v82, 0, v132, vcc_lo
.LBB4_631:                              ;   in Loop: Header=BB4_530 Depth=2
	s_or_b32 exec_lo, exec_lo, s19
.LBB4_632:                              ;   in Loop: Header=BB4_530 Depth=2
	s_delay_alu instid0(SALU_CYCLE_1) | instskip(SKIP_3) | instid1(SALU_CYCLE_1)
	s_or_b32 exec_lo, exec_lo, s9
	v_lshrrev_b32_e32 v133, 24, v17
	v_lshrrev_b32_e32 v132, 24, v97
                                        ; implicit-def: $vgpr134
	s_and_saveexec_b32 s8, s6
	s_xor_b32 s8, exec_lo, s8
	s_cbranch_execz .LBB4_642
; %bb.633:                              ;   in Loop: Header=BB4_530 Depth=2
	s_mov_b32 s9, 0
	s_mov_b32 s20, exec_lo
                                        ; implicit-def: $sgpr19
	v_cmpx_lt_i16_e64 0x7f, v133
	s_xor_b32 s20, exec_lo, s20
	s_cbranch_execnz .LBB4_838
; %bb.634:                              ;   in Loop: Header=BB4_530 Depth=2
	s_or_saveexec_b32 s20, s20
	v_mov_b32_e32 v134, s19
	s_xor_b32 exec_lo, exec_lo, s20
	s_cbranch_execnz .LBB4_841
.LBB4_635:                              ;   in Loop: Header=BB4_530 Depth=2
	s_or_b32 exec_lo, exec_lo, s20
	s_and_saveexec_b32 s19, s9
	s_cbranch_execz .LBB4_637
.LBB4_636:                              ;   in Loop: Header=BB4_530 Depth=2
	v_bfe_u32 v134, v17, 24, 2
	s_delay_alu instid0(VALU_DEP_1) | instskip(NEXT) | instid1(VALU_DEP_1)
	v_clz_i32_u32_e32 v135, v134
	v_min_u32_e32 v135, 32, v135
	s_delay_alu instid0(VALU_DEP_1) | instskip(SKIP_1) | instid1(VALU_DEP_2)
	v_subrev_nc_u32_e32 v144, 29, v135
	v_sub_nc_u32_e32 v135, 30, v135
	v_lshlrev_b32_e32 v133, v144, v133
	v_bfe_u32 v144, v17, 26, 5
	v_and_b32_e32 v17, 0x80000000, v17
	s_delay_alu instid0(VALU_DEP_3) | instskip(NEXT) | instid1(VALU_DEP_3)
	v_and_b32_e32 v133, 3, v133
	v_cmp_eq_u32_e32 vcc_lo, 0, v144
	v_cndmask_b32_e32 v135, v144, v135, vcc_lo
	s_delay_alu instid0(VALU_DEP_3) | instskip(NEXT) | instid1(VALU_DEP_2)
	v_cndmask_b32_e32 v133, v134, v133, vcc_lo
	v_lshl_add_u32 v134, v135, 23, 0x37800000
	s_delay_alu instid0(VALU_DEP_2) | instskip(NEXT) | instid1(VALU_DEP_1)
	v_lshlrev_b32_e32 v133, 21, v133
	v_or3_b32 v134, v17, v134, v133
.LBB4_637:                              ;   in Loop: Header=BB4_530 Depth=2
	s_or_b32 exec_lo, exec_lo, s19
	s_mov_b32 s9, 0
	s_mov_b32 s20, exec_lo
                                        ; implicit-def: $sgpr19
	v_cmpx_lt_i16_e64 0x7f, v132
	s_xor_b32 s20, exec_lo, s20
	s_cbranch_execnz .LBB4_842
; %bb.638:                              ;   in Loop: Header=BB4_530 Depth=2
	s_or_saveexec_b32 s20, s20
	v_mov_b32_e32 v17, s19
	s_xor_b32 exec_lo, exec_lo, s20
	s_cbranch_execnz .LBB4_845
.LBB4_639:                              ;   in Loop: Header=BB4_530 Depth=2
	s_or_b32 exec_lo, exec_lo, s20
	s_and_saveexec_b32 s19, s9
	s_cbranch_execz .LBB4_641
.LBB4_640:                              ;   in Loop: Header=BB4_530 Depth=2
	v_bfe_u32 v17, v97, 24, 2
	s_delay_alu instid0(VALU_DEP_1) | instskip(NEXT) | instid1(VALU_DEP_1)
	v_clz_i32_u32_e32 v133, v17
	v_min_u32_e32 v133, 32, v133
	s_delay_alu instid0(VALU_DEP_1) | instskip(SKIP_1) | instid1(VALU_DEP_2)
	v_subrev_nc_u32_e32 v135, 29, v133
	v_sub_nc_u32_e32 v133, 30, v133
	v_lshlrev_b32_e32 v132, v135, v132
	v_bfe_u32 v135, v97, 26, 5
	v_and_b32_e32 v97, 0x80000000, v97
	s_delay_alu instid0(VALU_DEP_2) | instskip(NEXT) | instid1(VALU_DEP_4)
	v_cmp_eq_u32_e32 vcc_lo, 0, v135
	v_dual_cndmask_b32 v133, v135, v133 :: v_dual_and_b32 v132, 3, v132
	s_delay_alu instid0(VALU_DEP_1) | instskip(NEXT) | instid1(VALU_DEP_2)
	v_cndmask_b32_e32 v17, v17, v132, vcc_lo
	v_lshl_add_u32 v132, v133, 23, 0x37800000
	s_delay_alu instid0(VALU_DEP_2) | instskip(NEXT) | instid1(VALU_DEP_1)
	v_lshlrev_b32_e32 v17, 21, v17
	v_or3_b32 v17, v97, v132, v17
.LBB4_641:                              ;   in Loop: Header=BB4_530 Depth=2
	s_or_b32 exec_lo, exec_lo, s19
	s_delay_alu instid0(VALU_DEP_1) | instskip(SKIP_1) | instid1(VALU_DEP_1)
	v_max_f32_e32 v17, v17, v17
	v_max_f32_e32 v97, v134, v134
                                        ; implicit-def: $vgpr132
                                        ; implicit-def: $vgpr133
	v_max_f32_e32 v134, v97, v17
                                        ; implicit-def: $vgpr97
.LBB4_642:                              ;   in Loop: Header=BB4_530 Depth=2
	s_and_not1_saveexec_b32 s8, s8
	s_cbranch_execz .LBB4_652
; %bb.643:                              ;   in Loop: Header=BB4_530 Depth=2
	s_mov_b32 s9, 0
	s_mov_b32 s20, exec_lo
                                        ; implicit-def: $sgpr19
	v_cmpx_lt_i16_e64 0x7f, v133
	s_xor_b32 s20, exec_lo, s20
	s_cbranch_execnz .LBB4_846
; %bb.644:                              ;   in Loop: Header=BB4_530 Depth=2
	s_or_saveexec_b32 s20, s20
	v_mov_b32_e32 v134, s19
	s_xor_b32 exec_lo, exec_lo, s20
	s_cbranch_execnz .LBB4_849
.LBB4_645:                              ;   in Loop: Header=BB4_530 Depth=2
	s_or_b32 exec_lo, exec_lo, s20
	s_and_saveexec_b32 s19, s9
	s_cbranch_execz .LBB4_647
.LBB4_646:                              ;   in Loop: Header=BB4_530 Depth=2
	v_bfe_u32 v134, v17, 24, 2
	s_delay_alu instid0(VALU_DEP_1) | instskip(NEXT) | instid1(VALU_DEP_1)
	v_clz_i32_u32_e32 v135, v134
	v_min_u32_e32 v135, 32, v135
	s_delay_alu instid0(VALU_DEP_1) | instskip(SKIP_1) | instid1(VALU_DEP_2)
	v_subrev_nc_u32_e32 v144, 29, v135
	v_sub_nc_u32_e32 v135, 30, v135
	v_lshlrev_b32_e32 v133, v144, v133
	v_bfe_u32 v144, v17, 26, 5
	v_and_b32_e32 v17, 0x80000000, v17
	s_delay_alu instid0(VALU_DEP_3) | instskip(NEXT) | instid1(VALU_DEP_3)
	v_and_b32_e32 v133, 3, v133
	v_cmp_eq_u32_e32 vcc_lo, 0, v144
	v_cndmask_b32_e32 v135, v144, v135, vcc_lo
	s_delay_alu instid0(VALU_DEP_3) | instskip(NEXT) | instid1(VALU_DEP_2)
	v_cndmask_b32_e32 v133, v134, v133, vcc_lo
	v_lshl_add_u32 v134, v135, 23, 0x37800000
	s_delay_alu instid0(VALU_DEP_2) | instskip(NEXT) | instid1(VALU_DEP_1)
	v_lshlrev_b32_e32 v133, 21, v133
	v_or3_b32 v134, v17, v134, v133
.LBB4_647:                              ;   in Loop: Header=BB4_530 Depth=2
	s_or_b32 exec_lo, exec_lo, s19
	s_mov_b32 s9, 0
	s_mov_b32 s20, exec_lo
                                        ; implicit-def: $sgpr19
	v_cmpx_lt_i16_e64 0x7f, v132
	s_xor_b32 s20, exec_lo, s20
	s_cbranch_execnz .LBB4_850
; %bb.648:                              ;   in Loop: Header=BB4_530 Depth=2
	s_or_saveexec_b32 s20, s20
	v_mov_b32_e32 v17, s19
	s_xor_b32 exec_lo, exec_lo, s20
	s_cbranch_execnz .LBB4_853
.LBB4_649:                              ;   in Loop: Header=BB4_530 Depth=2
	s_or_b32 exec_lo, exec_lo, s20
	s_and_saveexec_b32 s19, s9
	s_cbranch_execz .LBB4_651
.LBB4_650:                              ;   in Loop: Header=BB4_530 Depth=2
	v_bfe_u32 v17, v97, 24, 2
	s_delay_alu instid0(VALU_DEP_1) | instskip(NEXT) | instid1(VALU_DEP_1)
	v_clz_i32_u32_e32 v133, v17
	v_min_u32_e32 v133, 32, v133
	s_delay_alu instid0(VALU_DEP_1) | instskip(SKIP_1) | instid1(VALU_DEP_2)
	v_subrev_nc_u32_e32 v135, 29, v133
	v_sub_nc_u32_e32 v133, 30, v133
	v_lshlrev_b32_e32 v132, v135, v132
	v_bfe_u32 v135, v97, 26, 5
	v_and_b32_e32 v97, 0x80000000, v97
	s_delay_alu instid0(VALU_DEP_2) | instskip(NEXT) | instid1(VALU_DEP_4)
	v_cmp_eq_u32_e32 vcc_lo, 0, v135
	v_dual_cndmask_b32 v133, v135, v133 :: v_dual_and_b32 v132, 3, v132
	s_delay_alu instid0(VALU_DEP_1) | instskip(NEXT) | instid1(VALU_DEP_2)
	v_cndmask_b32_e32 v17, v17, v132, vcc_lo
	v_lshl_add_u32 v132, v133, 23, 0x37800000
	s_delay_alu instid0(VALU_DEP_2) | instskip(NEXT) | instid1(VALU_DEP_1)
	v_lshlrev_b32_e32 v17, 21, v17
	v_or3_b32 v17, v97, v132, v17
.LBB4_651:                              ;   in Loop: Header=BB4_530 Depth=2
	s_or_b32 exec_lo, exec_lo, s19
	s_delay_alu instid0(VALU_DEP_1) | instskip(SKIP_1) | instid1(VALU_DEP_1)
	v_max_f32_e32 v17, v17, v17
	v_max_f32_e32 v97, v134, v134
	v_min_f32_e32 v134, v97, v17
.LBB4_652:                              ;   in Loop: Header=BB4_530 Depth=2
	s_or_b32 exec_lo, exec_lo, s8
	s_delay_alu instid0(VALU_DEP_1) | instskip(SKIP_2) | instid1(VALU_DEP_2)
	v_and_b32_e32 v17, 0x7f800000, v134
	v_mov_b32_e32 v97, 0x80
	s_mov_b32 s9, exec_lo
	v_cmpx_ne_u32_e32 0x7f800000, v17
	s_cbranch_execz .LBB4_660
; %bb.653:                              ;   in Loop: Header=BB4_530 Depth=2
	v_mov_b32_e32 v97, 0
	s_mov_b32 s19, exec_lo
	v_cmpx_ne_u32_e32 0, v134
	s_cbranch_execz .LBB4_659
; %bb.654:                              ;   in Loop: Header=BB4_530 Depth=2
	v_bfe_u32 v17, v134, 23, 8
	s_delay_alu instid0(VALU_DEP_1) | instskip(SKIP_1) | instid1(VALU_DEP_2)
	v_sub_nc_u32_e32 v132, 0x70, v17
	v_cmp_gt_u32_e32 vcc_lo, 0x71, v17
	v_dual_cndmask_b32 v132, 0, v132 :: v_dual_and_b32 v97, 0x7fffff, v134
	s_delay_alu instid0(VALU_DEP_1) | instskip(SKIP_2) | instid1(VALU_DEP_4)
	v_or_b32_e32 v133, 0x800000, v97
	v_cmp_eq_u32_e32 vcc_lo, 0, v17
	v_add_nc_u32_e32 v17, 0xffffff91, v17
	v_cndmask_b32_e64 v132, v132, 0x6f, vcc_lo
	s_delay_alu instid0(VALU_DEP_4) | instskip(NEXT) | instid1(VALU_DEP_3)
	v_cndmask_b32_e32 v97, v133, v97, vcc_lo
	v_cndmask_b32_e64 v17, v17, 0xffffff92, vcc_lo
	s_delay_alu instid0(VALU_DEP_3) | instskip(NEXT) | instid1(VALU_DEP_3)
	v_lshl_add_u32 v133, 0x200000, v132, -1
	v_lshrrev_b32_e32 v135, v132, v97
	v_lshlrev_b32_e64 v145, v132, 0x100000
	s_delay_alu instid0(VALU_DEP_4) | instskip(NEXT) | instid1(VALU_DEP_4)
	v_add_nc_u32_e32 v132, v132, v17
	v_and_b32_e32 v97, v133, v97
	s_delay_alu instid0(VALU_DEP_4) | instskip(NEXT) | instid1(VALU_DEP_2)
	v_bfe_u32 v144, v135, 21, 1
	v_cmp_eq_u32_e64 s8, v97, v145
	s_delay_alu instid0(VALU_DEP_2) | instskip(NEXT) | instid1(VALU_DEP_1)
	v_add_nc_u32_e32 v133, -1, v144
	v_cndmask_b32_e64 v97, 0, v133, s8
	v_lshrrev_b32_e32 v133, 23, v135
	s_mov_b32 s8, exec_lo
	s_delay_alu instid0(VALU_DEP_2) | instskip(NEXT) | instid1(VALU_DEP_2)
	v_add_nc_u32_e32 v97, v97, v135
	v_xor_b32_e32 v133, 1, v133
	s_delay_alu instid0(VALU_DEP_2) | instskip(NEXT) | instid1(VALU_DEP_1)
	v_and_b32_e32 v17, 0x1fffff, v97
	v_add_nc_u32_e32 v97, v17, v135
                                        ; implicit-def: $vgpr17
	s_delay_alu instid0(VALU_DEP_3)
	v_cmpx_ne_u32_e64 v132, v133
	s_xor_b32 s8, exec_lo, s8
; %bb.655:                              ;   in Loop: Header=BB4_530 Depth=2
	s_delay_alu instid0(VALU_DEP_2) | instskip(SKIP_2) | instid1(VALU_DEP_2)
	v_cmp_lt_u32_e32 vcc_lo, 0xffffff, v97
	v_sub_nc_u32_e32 v17, v132, v133
	v_cndmask_b32_e64 v132, 0, 1, vcc_lo
	v_add_co_ci_u32_e32 v17, vcc_lo, 0, v17, vcc_lo
	s_delay_alu instid0(VALU_DEP_2)
	v_lshrrev_b32_e32 v97, v132, v97
; %bb.656:                              ;   in Loop: Header=BB4_530 Depth=2
	s_and_not1_saveexec_b32 s8, s8
; %bb.657:                              ;   in Loop: Header=BB4_530 Depth=2
	s_delay_alu instid0(VALU_DEP_1)
	v_bfe_u32 v17, v97, 23, 1
; %bb.658:                              ;   in Loop: Header=BB4_530 Depth=2
	s_or_b32 exec_lo, exec_lo, s8
	v_lshrrev_b32_e32 v97, 21, v97
	s_delay_alu instid0(VALU_DEP_2) | instskip(SKIP_2) | instid1(VALU_DEP_2)
	v_cmp_gt_i32_e32 vcc_lo, 32, v17
	v_lshrrev_b32_e32 v132, 24, v134
	v_min_i32_e32 v133, 31, v17
	v_dual_cndmask_b32 v97, 3, v97 :: v_dual_and_b32 v132, 0x80, v132
	s_delay_alu instid0(VALU_DEP_2) | instskip(NEXT) | instid1(VALU_DEP_2)
	v_lshlrev_b32_e32 v133, 2, v133
	v_and_b32_e32 v134, 3, v97
	v_or_b32_e32 v17, v17, v97
	s_delay_alu instid0(VALU_DEP_2) | instskip(NEXT) | instid1(VALU_DEP_2)
	v_or3_b32 v97, v133, v132, v134
	v_cmp_ne_u32_e32 vcc_lo, 0, v17
	s_delay_alu instid0(VALU_DEP_2)
	v_cndmask_b32_e32 v97, 0, v97, vcc_lo
.LBB4_659:                              ;   in Loop: Header=BB4_530 Depth=2
	s_or_b32 exec_lo, exec_lo, s19
.LBB4_660:                              ;   in Loop: Header=BB4_530 Depth=2
	s_delay_alu instid0(SALU_CYCLE_1) | instskip(SKIP_2) | instid1(SALU_CYCLE_1)
	s_or_b32 exec_lo, exec_lo, s9
	v_alignbit_b32 v87, v87, v96, v18
                                        ; implicit-def: $vgpr18
	s_and_saveexec_b32 s8, s6
	s_xor_b32 s8, exec_lo, s8
	s_cbranch_execz .LBB4_670
; %bb.661:                              ;   in Loop: Header=BB4_530 Depth=2
	v_and_b32_e32 v18, 0xff, v19
	s_mov_b32 s9, 0
	s_mov_b32 s20, exec_lo
                                        ; implicit-def: $sgpr19
	s_delay_alu instid0(VALU_DEP_1)
	v_cmpx_lt_i16_e32 0x7f, v18
	s_xor_b32 s20, exec_lo, s20
	s_cbranch_execnz .LBB4_854
; %bb.662:                              ;   in Loop: Header=BB4_530 Depth=2
	s_or_saveexec_b32 s20, s20
	v_mov_b32_e32 v17, s19
	s_xor_b32 exec_lo, exec_lo, s20
	s_cbranch_execnz .LBB4_857
.LBB4_663:                              ;   in Loop: Header=BB4_530 Depth=2
	s_or_b32 exec_lo, exec_lo, s20
	s_and_saveexec_b32 s19, s9
	s_cbranch_execz .LBB4_665
.LBB4_664:                              ;   in Loop: Header=BB4_530 Depth=2
	v_bfe_u32 v132, v19, 2, 5
	v_lshlrev_b32_e32 v133, 24, v19
	s_delay_alu instid0(VALU_DEP_2) | instskip(SKIP_1) | instid1(VALU_DEP_1)
	v_cmp_eq_u32_e32 vcc_lo, 0, v132
	v_and_b32_e32 v17, 3, v19
	v_clz_i32_u32_e32 v18, v17
	s_delay_alu instid0(VALU_DEP_1) | instskip(NEXT) | instid1(VALU_DEP_1)
	v_min_u32_e32 v18, 32, v18
	v_subrev_nc_u32_e32 v96, 29, v18
	v_sub_nc_u32_e32 v18, 30, v18
	s_delay_alu instid0(VALU_DEP_2) | instskip(NEXT) | instid1(VALU_DEP_2)
	v_lshlrev_b32_e32 v96, v96, v19
	v_cndmask_b32_e32 v18, v132, v18, vcc_lo
	s_delay_alu instid0(VALU_DEP_2) | instskip(NEXT) | instid1(VALU_DEP_2)
	v_and_b32_e32 v96, 3, v96
	v_lshl_add_u32 v18, v18, 23, 0x37800000
	s_delay_alu instid0(VALU_DEP_2) | instskip(NEXT) | instid1(VALU_DEP_1)
	v_dual_cndmask_b32 v17, v17, v96 :: v_dual_and_b32 v96, 0x80000000, v133
	v_lshlrev_b32_e32 v17, 21, v17
	s_delay_alu instid0(VALU_DEP_1)
	v_or3_b32 v17, v96, v18, v17
.LBB4_665:                              ;   in Loop: Header=BB4_530 Depth=2
	s_or_b32 exec_lo, exec_lo, s19
	v_and_b32_e32 v96, 0xff, v87
	s_mov_b32 s9, 0
	s_mov_b32 s20, exec_lo
                                        ; implicit-def: $sgpr19
	s_delay_alu instid0(VALU_DEP_1)
	v_cmpx_lt_i16_e32 0x7f, v96
	s_xor_b32 s20, exec_lo, s20
	s_cbranch_execnz .LBB4_858
; %bb.666:                              ;   in Loop: Header=BB4_530 Depth=2
	s_or_saveexec_b32 s20, s20
	v_mov_b32_e32 v18, s19
	s_xor_b32 exec_lo, exec_lo, s20
	s_cbranch_execnz .LBB4_861
.LBB4_667:                              ;   in Loop: Header=BB4_530 Depth=2
	s_or_b32 exec_lo, exec_lo, s20
	s_and_saveexec_b32 s19, s9
	s_cbranch_execz .LBB4_669
.LBB4_668:                              ;   in Loop: Header=BB4_530 Depth=2
	v_and_b32_e32 v18, 3, v87
	v_bfe_u32 v133, v87, 2, 5
	v_lshlrev_b32_e32 v134, 24, v87
	s_delay_alu instid0(VALU_DEP_3) | instskip(NEXT) | instid1(VALU_DEP_3)
	v_clz_i32_u32_e32 v96, v18
	v_cmp_eq_u32_e32 vcc_lo, 0, v133
	s_delay_alu instid0(VALU_DEP_2) | instskip(NEXT) | instid1(VALU_DEP_1)
	v_min_u32_e32 v96, 32, v96
	v_subrev_nc_u32_e32 v132, 29, v96
	v_sub_nc_u32_e32 v96, 30, v96
	s_delay_alu instid0(VALU_DEP_2) | instskip(NEXT) | instid1(VALU_DEP_2)
	v_lshlrev_b32_e32 v132, v132, v87
	v_cndmask_b32_e32 v96, v133, v96, vcc_lo
	s_delay_alu instid0(VALU_DEP_2) | instskip(NEXT) | instid1(VALU_DEP_2)
	v_and_b32_e32 v132, 3, v132
	v_lshl_add_u32 v96, v96, 23, 0x37800000
	s_delay_alu instid0(VALU_DEP_2) | instskip(SKIP_1) | instid1(VALU_DEP_2)
	v_cndmask_b32_e32 v18, v18, v132, vcc_lo
	v_and_b32_e32 v132, 0x80000000, v134
	v_lshlrev_b32_e32 v18, 21, v18
	s_delay_alu instid0(VALU_DEP_1)
	v_or3_b32 v18, v132, v96, v18
.LBB4_669:                              ;   in Loop: Header=BB4_530 Depth=2
	s_or_b32 exec_lo, exec_lo, s19
	s_delay_alu instid0(VALU_DEP_1) | instskip(NEXT) | instid1(VALU_DEP_1)
	v_dual_max_f32 v18, v18, v18 :: v_dual_max_f32 v17, v17, v17
	v_max_f32_e32 v18, v17, v18
.LBB4_670:                              ;   in Loop: Header=BB4_530 Depth=2
	s_and_not1_saveexec_b32 s8, s8
	s_cbranch_execz .LBB4_680
; %bb.671:                              ;   in Loop: Header=BB4_530 Depth=2
	v_and_b32_e32 v18, 0xff, v19
	s_mov_b32 s9, 0
	s_mov_b32 s20, exec_lo
                                        ; implicit-def: $sgpr19
	s_delay_alu instid0(VALU_DEP_1)
	v_cmpx_lt_i16_e32 0x7f, v18
	s_xor_b32 s20, exec_lo, s20
	s_cbranch_execnz .LBB4_862
; %bb.672:                              ;   in Loop: Header=BB4_530 Depth=2
	s_or_saveexec_b32 s20, s20
	v_mov_b32_e32 v17, s19
	s_xor_b32 exec_lo, exec_lo, s20
	s_cbranch_execnz .LBB4_865
.LBB4_673:                              ;   in Loop: Header=BB4_530 Depth=2
	s_or_b32 exec_lo, exec_lo, s20
	s_and_saveexec_b32 s19, s9
	s_cbranch_execz .LBB4_675
.LBB4_674:                              ;   in Loop: Header=BB4_530 Depth=2
	v_bfe_u32 v132, v19, 2, 5
	v_lshlrev_b32_e32 v133, 24, v19
	s_delay_alu instid0(VALU_DEP_2) | instskip(SKIP_1) | instid1(VALU_DEP_1)
	v_cmp_eq_u32_e32 vcc_lo, 0, v132
	v_and_b32_e32 v17, 3, v19
	v_clz_i32_u32_e32 v18, v17
	s_delay_alu instid0(VALU_DEP_1) | instskip(NEXT) | instid1(VALU_DEP_1)
	v_min_u32_e32 v18, 32, v18
	v_subrev_nc_u32_e32 v96, 29, v18
	v_sub_nc_u32_e32 v18, 30, v18
	s_delay_alu instid0(VALU_DEP_2) | instskip(NEXT) | instid1(VALU_DEP_2)
	v_lshlrev_b32_e32 v96, v96, v19
	v_cndmask_b32_e32 v18, v132, v18, vcc_lo
	s_delay_alu instid0(VALU_DEP_2) | instskip(NEXT) | instid1(VALU_DEP_2)
	v_and_b32_e32 v96, 3, v96
	v_lshl_add_u32 v18, v18, 23, 0x37800000
	s_delay_alu instid0(VALU_DEP_2) | instskip(NEXT) | instid1(VALU_DEP_1)
	v_dual_cndmask_b32 v17, v17, v96 :: v_dual_and_b32 v96, 0x80000000, v133
	v_lshlrev_b32_e32 v17, 21, v17
	s_delay_alu instid0(VALU_DEP_1)
	v_or3_b32 v17, v96, v18, v17
.LBB4_675:                              ;   in Loop: Header=BB4_530 Depth=2
	s_or_b32 exec_lo, exec_lo, s19
	v_and_b32_e32 v96, 0xff, v87
	s_mov_b32 s9, 0
	s_mov_b32 s20, exec_lo
                                        ; implicit-def: $sgpr19
	s_delay_alu instid0(VALU_DEP_1)
	v_cmpx_lt_i16_e32 0x7f, v96
	s_xor_b32 s20, exec_lo, s20
	s_cbranch_execnz .LBB4_866
; %bb.676:                              ;   in Loop: Header=BB4_530 Depth=2
	s_or_saveexec_b32 s20, s20
	v_mov_b32_e32 v18, s19
	s_xor_b32 exec_lo, exec_lo, s20
	s_cbranch_execnz .LBB4_869
.LBB4_677:                              ;   in Loop: Header=BB4_530 Depth=2
	s_or_b32 exec_lo, exec_lo, s20
	s_and_saveexec_b32 s19, s9
	s_cbranch_execz .LBB4_679
.LBB4_678:                              ;   in Loop: Header=BB4_530 Depth=2
	v_and_b32_e32 v18, 3, v87
	v_bfe_u32 v133, v87, 2, 5
	v_lshlrev_b32_e32 v134, 24, v87
	s_delay_alu instid0(VALU_DEP_3) | instskip(NEXT) | instid1(VALU_DEP_3)
	v_clz_i32_u32_e32 v96, v18
	v_cmp_eq_u32_e32 vcc_lo, 0, v133
	s_delay_alu instid0(VALU_DEP_2) | instskip(NEXT) | instid1(VALU_DEP_1)
	v_min_u32_e32 v96, 32, v96
	v_subrev_nc_u32_e32 v132, 29, v96
	v_sub_nc_u32_e32 v96, 30, v96
	s_delay_alu instid0(VALU_DEP_2) | instskip(NEXT) | instid1(VALU_DEP_2)
	v_lshlrev_b32_e32 v132, v132, v87
	v_cndmask_b32_e32 v96, v133, v96, vcc_lo
	s_delay_alu instid0(VALU_DEP_2) | instskip(NEXT) | instid1(VALU_DEP_2)
	v_and_b32_e32 v132, 3, v132
	v_lshl_add_u32 v96, v96, 23, 0x37800000
	s_delay_alu instid0(VALU_DEP_2) | instskip(SKIP_1) | instid1(VALU_DEP_2)
	v_cndmask_b32_e32 v18, v18, v132, vcc_lo
	v_and_b32_e32 v132, 0x80000000, v134
	v_lshlrev_b32_e32 v18, 21, v18
	s_delay_alu instid0(VALU_DEP_1)
	v_or3_b32 v18, v132, v96, v18
.LBB4_679:                              ;   in Loop: Header=BB4_530 Depth=2
	s_or_b32 exec_lo, exec_lo, s19
	s_delay_alu instid0(VALU_DEP_1) | instskip(NEXT) | instid1(VALU_DEP_1)
	v_dual_max_f32 v18, v18, v18 :: v_dual_max_f32 v17, v17, v17
	v_min_f32_e32 v18, v17, v18
.LBB4_680:                              ;   in Loop: Header=BB4_530 Depth=2
	s_or_b32 exec_lo, exec_lo, s8
	s_delay_alu instid0(VALU_DEP_1) | instskip(NEXT) | instid1(VALU_DEP_1)
	v_dual_mov_b32 v17, v19 :: v_dual_and_b32 v96, 0x7f800000, v18
	v_cmp_ne_u32_e32 vcc_lo, 0x7f800000, v96
	v_mov_b32_e32 v96, 0x80
	s_and_saveexec_b32 s9, vcc_lo
	s_cbranch_execz .LBB4_688
; %bb.681:                              ;   in Loop: Header=BB4_530 Depth=2
	v_mov_b32_e32 v96, 0
	s_mov_b32 s19, exec_lo
	v_cmpx_ne_u32_e32 0, v18
	s_cbranch_execz .LBB4_687
; %bb.682:                              ;   in Loop: Header=BB4_530 Depth=2
	v_bfe_u32 v96, v18, 23, 8
	s_delay_alu instid0(VALU_DEP_1) | instskip(SKIP_1) | instid1(VALU_DEP_2)
	v_sub_nc_u32_e32 v133, 0x70, v96
	v_cmp_gt_u32_e32 vcc_lo, 0x71, v96
	v_dual_cndmask_b32 v133, 0, v133 :: v_dual_and_b32 v132, 0x7fffff, v18
	s_delay_alu instid0(VALU_DEP_1) | instskip(SKIP_2) | instid1(VALU_DEP_4)
	v_or_b32_e32 v134, 0x800000, v132
	v_cmp_eq_u32_e32 vcc_lo, 0, v96
	v_add_nc_u32_e32 v96, 0xffffff91, v96
	v_cndmask_b32_e64 v133, v133, 0x6f, vcc_lo
	s_delay_alu instid0(VALU_DEP_4) | instskip(NEXT) | instid1(VALU_DEP_3)
	v_cndmask_b32_e32 v132, v134, v132, vcc_lo
	v_cndmask_b32_e64 v96, v96, 0xffffff92, vcc_lo
	s_delay_alu instid0(VALU_DEP_3) | instskip(NEXT) | instid1(VALU_DEP_3)
	v_lshl_add_u32 v134, 0x200000, v133, -1
	v_lshrrev_b32_e32 v135, v133, v132
	v_lshlrev_b32_e64 v145, v133, 0x100000
	s_delay_alu instid0(VALU_DEP_4) | instskip(NEXT) | instid1(VALU_DEP_4)
	v_add_nc_u32_e32 v133, v133, v96
	v_and_b32_e32 v132, v134, v132
	s_delay_alu instid0(VALU_DEP_4) | instskip(NEXT) | instid1(VALU_DEP_2)
	v_bfe_u32 v144, v135, 21, 1
	v_cmp_eq_u32_e64 s8, v132, v145
	s_delay_alu instid0(VALU_DEP_2) | instskip(NEXT) | instid1(VALU_DEP_1)
	v_add_nc_u32_e32 v134, -1, v144
	v_cndmask_b32_e64 v132, 0, v134, s8
	v_lshrrev_b32_e32 v134, 23, v135
	s_mov_b32 s8, exec_lo
	s_delay_alu instid0(VALU_DEP_2) | instskip(NEXT) | instid1(VALU_DEP_2)
	v_add_nc_u32_e32 v132, v132, v135
	v_xor_b32_e32 v134, 1, v134
	s_delay_alu instid0(VALU_DEP_2) | instskip(NEXT) | instid1(VALU_DEP_1)
	v_and_b32_e32 v96, 0x1fffff, v132
	v_add_nc_u32_e32 v132, v96, v135
                                        ; implicit-def: $vgpr96
	s_delay_alu instid0(VALU_DEP_3)
	v_cmpx_ne_u32_e64 v133, v134
	s_xor_b32 s8, exec_lo, s8
; %bb.683:                              ;   in Loop: Header=BB4_530 Depth=2
	s_delay_alu instid0(VALU_DEP_2) | instskip(SKIP_2) | instid1(VALU_DEP_2)
	v_cmp_lt_u32_e32 vcc_lo, 0xffffff, v132
	v_sub_nc_u32_e32 v96, v133, v134
	v_cndmask_b32_e64 v133, 0, 1, vcc_lo
	v_add_co_ci_u32_e32 v96, vcc_lo, 0, v96, vcc_lo
	s_delay_alu instid0(VALU_DEP_2)
	v_lshrrev_b32_e32 v132, v133, v132
; %bb.684:                              ;   in Loop: Header=BB4_530 Depth=2
	s_and_not1_saveexec_b32 s8, s8
; %bb.685:                              ;   in Loop: Header=BB4_530 Depth=2
	s_delay_alu instid0(VALU_DEP_1)
	v_bfe_u32 v96, v132, 23, 1
; %bb.686:                              ;   in Loop: Header=BB4_530 Depth=2
	s_or_b32 exec_lo, exec_lo, s8
	v_lshrrev_b32_e32 v132, 21, v132
	s_delay_alu instid0(VALU_DEP_2) | instskip(SKIP_2) | instid1(VALU_DEP_4)
	v_cmp_gt_i32_e32 vcc_lo, 32, v96
	v_lshrrev_b32_e32 v18, 24, v18
	v_min_i32_e32 v133, 31, v96
	v_cndmask_b32_e32 v132, 3, v132, vcc_lo
	s_delay_alu instid0(VALU_DEP_3) | instskip(NEXT) | instid1(VALU_DEP_3)
	v_and_b32_e32 v18, 0x80, v18
	v_lshlrev_b32_e32 v133, 2, v133
	s_delay_alu instid0(VALU_DEP_3) | instskip(SKIP_1) | instid1(VALU_DEP_2)
	v_and_b32_e32 v134, 3, v132
	v_or_b32_e32 v96, v96, v132
	v_or3_b32 v18, v133, v18, v134
	s_delay_alu instid0(VALU_DEP_2) | instskip(NEXT) | instid1(VALU_DEP_2)
	v_cmp_ne_u32_e32 vcc_lo, 0, v96
	v_cndmask_b32_e32 v96, 0, v18, vcc_lo
.LBB4_687:                              ;   in Loop: Header=BB4_530 Depth=2
	s_or_b32 exec_lo, exec_lo, s19
.LBB4_688:                              ;   in Loop: Header=BB4_530 Depth=2
	s_delay_alu instid0(SALU_CYCLE_1) | instskip(SKIP_3) | instid1(SALU_CYCLE_1)
	s_or_b32 exec_lo, exec_lo, s9
	v_lshrrev_b16 v133, 8, v17
	v_lshrrev_b16 v132, 8, v87
                                        ; implicit-def: $vgpr134
	s_and_saveexec_b32 s8, s6
	s_xor_b32 s8, exec_lo, s8
	s_cbranch_execz .LBB4_698
; %bb.689:                              ;   in Loop: Header=BB4_530 Depth=2
	s_mov_b32 s9, 0
	s_mov_b32 s20, exec_lo
                                        ; implicit-def: $sgpr19
	v_cmpx_lt_i16_e64 0x7f, v133
	s_xor_b32 s20, exec_lo, s20
	s_cbranch_execnz .LBB4_870
; %bb.690:                              ;   in Loop: Header=BB4_530 Depth=2
	s_or_saveexec_b32 s20, s20
	v_mov_b32_e32 v18, s19
	s_xor_b32 exec_lo, exec_lo, s20
	s_cbranch_execnz .LBB4_873
.LBB4_691:                              ;   in Loop: Header=BB4_530 Depth=2
	s_or_b32 exec_lo, exec_lo, s20
	s_and_saveexec_b32 s19, s9
	s_cbranch_execz .LBB4_693
.LBB4_692:                              ;   in Loop: Header=BB4_530 Depth=2
	v_and_b32_e32 v18, 0xffff, v133
	v_lshlrev_b32_e32 v17, 16, v17
	s_delay_alu instid0(VALU_DEP_2) | instskip(NEXT) | instid1(VALU_DEP_2)
	v_and_b32_e32 v133, 3, v18
	v_and_b32_e32 v17, 0x80000000, v17
	s_delay_alu instid0(VALU_DEP_2) | instskip(NEXT) | instid1(VALU_DEP_1)
	v_clz_i32_u32_e32 v134, v133
	v_min_u32_e32 v134, 32, v134
	s_delay_alu instid0(VALU_DEP_1) | instskip(SKIP_1) | instid1(VALU_DEP_2)
	v_subrev_nc_u32_e32 v135, 29, v134
	v_sub_nc_u32_e32 v134, 30, v134
	v_lshlrev_b32_e32 v135, v135, v18
	v_bfe_u32 v18, v18, 2, 5
	s_delay_alu instid0(VALU_DEP_1) | instskip(NEXT) | instid1(VALU_DEP_3)
	v_cmp_eq_u32_e32 vcc_lo, 0, v18
	v_dual_cndmask_b32 v18, v18, v134 :: v_dual_and_b32 v135, 3, v135
	s_delay_alu instid0(VALU_DEP_1) | instskip(NEXT) | instid1(VALU_DEP_2)
	v_cndmask_b32_e32 v133, v133, v135, vcc_lo
	v_lshl_add_u32 v18, v18, 23, 0x37800000
	s_delay_alu instid0(VALU_DEP_2) | instskip(NEXT) | instid1(VALU_DEP_1)
	v_lshlrev_b32_e32 v133, 21, v133
	v_or3_b32 v18, v17, v18, v133
.LBB4_693:                              ;   in Loop: Header=BB4_530 Depth=2
	s_or_b32 exec_lo, exec_lo, s19
	s_mov_b32 s9, 0
	s_mov_b32 s20, exec_lo
                                        ; implicit-def: $sgpr19
	v_cmpx_lt_i16_e64 0x7f, v132
	s_xor_b32 s20, exec_lo, s20
	s_cbranch_execnz .LBB4_874
; %bb.694:                              ;   in Loop: Header=BB4_530 Depth=2
	s_or_saveexec_b32 s20, s20
	v_mov_b32_e32 v17, s19
	s_xor_b32 exec_lo, exec_lo, s20
	s_cbranch_execnz .LBB4_877
.LBB4_695:                              ;   in Loop: Header=BB4_530 Depth=2
	s_or_b32 exec_lo, exec_lo, s20
	s_and_saveexec_b32 s19, s9
	s_cbranch_execz .LBB4_697
.LBB4_696:                              ;   in Loop: Header=BB4_530 Depth=2
	v_and_b32_e32 v17, 0xffff, v132
	v_lshlrev_b32_e32 v135, 16, v87
	s_delay_alu instid0(VALU_DEP_2) | instskip(NEXT) | instid1(VALU_DEP_1)
	v_and_b32_e32 v132, 3, v17
	v_clz_i32_u32_e32 v133, v132
	s_delay_alu instid0(VALU_DEP_1) | instskip(NEXT) | instid1(VALU_DEP_1)
	v_min_u32_e32 v133, 32, v133
	v_subrev_nc_u32_e32 v134, 29, v133
	v_sub_nc_u32_e32 v133, 30, v133
	s_delay_alu instid0(VALU_DEP_2) | instskip(SKIP_1) | instid1(VALU_DEP_1)
	v_lshlrev_b32_e32 v134, v134, v17
	v_bfe_u32 v17, v17, 2, 5
	v_cmp_eq_u32_e32 vcc_lo, 0, v17
	s_delay_alu instid0(VALU_DEP_3) | instskip(NEXT) | instid1(VALU_DEP_1)
	v_dual_cndmask_b32 v17, v17, v133 :: v_dual_and_b32 v134, 3, v134
	v_dual_cndmask_b32 v132, v132, v134 :: v_dual_and_b32 v133, 0x80000000, v135
	s_delay_alu instid0(VALU_DEP_2) | instskip(NEXT) | instid1(VALU_DEP_2)
	v_lshl_add_u32 v17, v17, 23, 0x37800000
	v_lshlrev_b32_e32 v132, 21, v132
	s_delay_alu instid0(VALU_DEP_1)
	v_or3_b32 v17, v133, v17, v132
.LBB4_697:                              ;   in Loop: Header=BB4_530 Depth=2
	s_or_b32 exec_lo, exec_lo, s19
	s_delay_alu instid0(VALU_DEP_1) | instskip(NEXT) | instid1(VALU_DEP_1)
	v_dual_max_f32 v17, v17, v17 :: v_dual_max_f32 v18, v18, v18
                                        ; implicit-def: $vgpr132
                                        ; implicit-def: $vgpr133
	v_max_f32_e32 v134, v18, v17
                                        ; implicit-def: $vgpr17_vgpr18
.LBB4_698:                              ;   in Loop: Header=BB4_530 Depth=2
	s_and_not1_saveexec_b32 s8, s8
	s_cbranch_execz .LBB4_708
; %bb.699:                              ;   in Loop: Header=BB4_530 Depth=2
	s_mov_b32 s9, 0
	s_mov_b32 s20, exec_lo
                                        ; implicit-def: $sgpr19
	v_cmpx_lt_i16_e64 0x7f, v133
	s_xor_b32 s20, exec_lo, s20
	s_cbranch_execnz .LBB4_878
; %bb.700:                              ;   in Loop: Header=BB4_530 Depth=2
	s_or_saveexec_b32 s20, s20
	v_mov_b32_e32 v18, s19
	s_xor_b32 exec_lo, exec_lo, s20
	s_cbranch_execnz .LBB4_881
.LBB4_701:                              ;   in Loop: Header=BB4_530 Depth=2
	s_or_b32 exec_lo, exec_lo, s20
	s_and_saveexec_b32 s19, s9
	s_cbranch_execz .LBB4_703
.LBB4_702:                              ;   in Loop: Header=BB4_530 Depth=2
	v_and_b32_e32 v18, 0xffff, v133
	v_lshlrev_b32_e32 v17, 16, v17
	s_delay_alu instid0(VALU_DEP_2) | instskip(NEXT) | instid1(VALU_DEP_2)
	v_and_b32_e32 v133, 3, v18
	v_and_b32_e32 v17, 0x80000000, v17
	s_delay_alu instid0(VALU_DEP_2) | instskip(NEXT) | instid1(VALU_DEP_1)
	v_clz_i32_u32_e32 v134, v133
	v_min_u32_e32 v134, 32, v134
	s_delay_alu instid0(VALU_DEP_1) | instskip(SKIP_1) | instid1(VALU_DEP_2)
	v_subrev_nc_u32_e32 v135, 29, v134
	v_sub_nc_u32_e32 v134, 30, v134
	v_lshlrev_b32_e32 v135, v135, v18
	v_bfe_u32 v18, v18, 2, 5
	s_delay_alu instid0(VALU_DEP_1) | instskip(NEXT) | instid1(VALU_DEP_3)
	v_cmp_eq_u32_e32 vcc_lo, 0, v18
	v_dual_cndmask_b32 v18, v18, v134 :: v_dual_and_b32 v135, 3, v135
	s_delay_alu instid0(VALU_DEP_1) | instskip(NEXT) | instid1(VALU_DEP_2)
	v_cndmask_b32_e32 v133, v133, v135, vcc_lo
	v_lshl_add_u32 v18, v18, 23, 0x37800000
	s_delay_alu instid0(VALU_DEP_2) | instskip(NEXT) | instid1(VALU_DEP_1)
	v_lshlrev_b32_e32 v133, 21, v133
	v_or3_b32 v18, v17, v18, v133
.LBB4_703:                              ;   in Loop: Header=BB4_530 Depth=2
	s_or_b32 exec_lo, exec_lo, s19
	s_mov_b32 s9, 0
	s_mov_b32 s20, exec_lo
                                        ; implicit-def: $sgpr19
	v_cmpx_lt_i16_e64 0x7f, v132
	s_xor_b32 s20, exec_lo, s20
	s_cbranch_execnz .LBB4_882
; %bb.704:                              ;   in Loop: Header=BB4_530 Depth=2
	s_or_saveexec_b32 s20, s20
	v_mov_b32_e32 v17, s19
	s_xor_b32 exec_lo, exec_lo, s20
	s_cbranch_execnz .LBB4_885
.LBB4_705:                              ;   in Loop: Header=BB4_530 Depth=2
	s_or_b32 exec_lo, exec_lo, s20
	s_and_saveexec_b32 s19, s9
	s_cbranch_execz .LBB4_707
.LBB4_706:                              ;   in Loop: Header=BB4_530 Depth=2
	v_and_b32_e32 v17, 0xffff, v132
	v_lshlrev_b32_e32 v135, 16, v87
	s_delay_alu instid0(VALU_DEP_2) | instskip(NEXT) | instid1(VALU_DEP_1)
	v_and_b32_e32 v132, 3, v17
	v_clz_i32_u32_e32 v133, v132
	s_delay_alu instid0(VALU_DEP_1) | instskip(NEXT) | instid1(VALU_DEP_1)
	v_min_u32_e32 v133, 32, v133
	v_subrev_nc_u32_e32 v134, 29, v133
	v_sub_nc_u32_e32 v133, 30, v133
	s_delay_alu instid0(VALU_DEP_2) | instskip(SKIP_1) | instid1(VALU_DEP_1)
	v_lshlrev_b32_e32 v134, v134, v17
	v_bfe_u32 v17, v17, 2, 5
	v_cmp_eq_u32_e32 vcc_lo, 0, v17
	s_delay_alu instid0(VALU_DEP_3) | instskip(NEXT) | instid1(VALU_DEP_1)
	v_dual_cndmask_b32 v17, v17, v133 :: v_dual_and_b32 v134, 3, v134
	v_dual_cndmask_b32 v132, v132, v134 :: v_dual_and_b32 v133, 0x80000000, v135
	s_delay_alu instid0(VALU_DEP_2) | instskip(NEXT) | instid1(VALU_DEP_2)
	v_lshl_add_u32 v17, v17, 23, 0x37800000
	v_lshlrev_b32_e32 v132, 21, v132
	s_delay_alu instid0(VALU_DEP_1)
	v_or3_b32 v17, v133, v17, v132
.LBB4_707:                              ;   in Loop: Header=BB4_530 Depth=2
	s_or_b32 exec_lo, exec_lo, s19
	s_delay_alu instid0(VALU_DEP_1) | instskip(NEXT) | instid1(VALU_DEP_1)
	v_dual_max_f32 v17, v17, v17 :: v_dual_max_f32 v18, v18, v18
	v_min_f32_e32 v134, v18, v17
.LBB4_708:                              ;   in Loop: Header=BB4_530 Depth=2
	s_or_b32 exec_lo, exec_lo, s8
	s_delay_alu instid0(VALU_DEP_1) | instskip(NEXT) | instid1(VALU_DEP_1)
	v_and_b32_e32 v17, 0x7f800000, v134
	v_cmp_ne_u32_e32 vcc_lo, 0x7f800000, v17
	v_mov_b32_e32 v17, 0x80
	s_and_saveexec_b32 s9, vcc_lo
	s_cbranch_execz .LBB4_716
; %bb.709:                              ;   in Loop: Header=BB4_530 Depth=2
	v_mov_b32_e32 v17, 0
	s_mov_b32 s19, exec_lo
	v_cmpx_ne_u32_e32 0, v134
	s_cbranch_execz .LBB4_715
; %bb.710:                              ;   in Loop: Header=BB4_530 Depth=2
	v_bfe_u32 v17, v134, 23, 8
	v_and_b32_e32 v18, 0x7fffff, v134
	s_delay_alu instid0(VALU_DEP_2) | instskip(SKIP_1) | instid1(VALU_DEP_3)
	v_sub_nc_u32_e32 v132, 0x70, v17
	v_cmp_gt_u32_e32 vcc_lo, 0x71, v17
	v_or_b32_e32 v133, 0x800000, v18
	s_delay_alu instid0(VALU_DEP_3) | instskip(SKIP_2) | instid1(VALU_DEP_3)
	v_cndmask_b32_e32 v132, 0, v132, vcc_lo
	v_cmp_eq_u32_e32 vcc_lo, 0, v17
	v_add_nc_u32_e32 v17, 0xffffff91, v17
	v_cndmask_b32_e64 v132, v132, 0x6f, vcc_lo
	v_cndmask_b32_e32 v18, v133, v18, vcc_lo
	s_delay_alu instid0(VALU_DEP_3) | instskip(NEXT) | instid1(VALU_DEP_3)
	v_cndmask_b32_e64 v17, v17, 0xffffff92, vcc_lo
	v_lshl_add_u32 v133, 0x200000, v132, -1
	s_delay_alu instid0(VALU_DEP_3) | instskip(SKIP_1) | instid1(VALU_DEP_4)
	v_lshrrev_b32_e32 v135, v132, v18
	v_lshlrev_b32_e64 v145, v132, 0x100000
	v_add_nc_u32_e32 v132, v132, v17
	s_delay_alu instid0(VALU_DEP_4) | instskip(NEXT) | instid1(VALU_DEP_4)
	v_and_b32_e32 v18, v133, v18
	v_bfe_u32 v144, v135, 21, 1
	s_delay_alu instid0(VALU_DEP_2) | instskip(NEXT) | instid1(VALU_DEP_2)
	v_cmp_eq_u32_e64 s8, v18, v145
	v_add_nc_u32_e32 v133, -1, v144
	s_delay_alu instid0(VALU_DEP_1) | instskip(SKIP_2) | instid1(VALU_DEP_2)
	v_cndmask_b32_e64 v18, 0, v133, s8
	v_lshrrev_b32_e32 v133, 23, v135
	s_mov_b32 s8, exec_lo
	v_add_nc_u32_e32 v18, v18, v135
	s_delay_alu instid0(VALU_DEP_2) | instskip(NEXT) | instid1(VALU_DEP_2)
	v_xor_b32_e32 v133, 1, v133
	v_and_b32_e32 v17, 0x1fffff, v18
	s_delay_alu instid0(VALU_DEP_1) | instskip(NEXT) | instid1(VALU_DEP_3)
	v_add_nc_u32_e32 v18, v17, v135
                                        ; implicit-def: $vgpr17
	v_cmpx_ne_u32_e64 v132, v133
	s_xor_b32 s8, exec_lo, s8
; %bb.711:                              ;   in Loop: Header=BB4_530 Depth=2
	s_delay_alu instid0(VALU_DEP_2) | instskip(SKIP_2) | instid1(VALU_DEP_2)
	v_cmp_lt_u32_e32 vcc_lo, 0xffffff, v18
	v_sub_nc_u32_e32 v17, v132, v133
	v_cndmask_b32_e64 v132, 0, 1, vcc_lo
	v_add_co_ci_u32_e32 v17, vcc_lo, 0, v17, vcc_lo
	s_delay_alu instid0(VALU_DEP_2)
	v_lshrrev_b32_e32 v18, v132, v18
; %bb.712:                              ;   in Loop: Header=BB4_530 Depth=2
	s_and_not1_saveexec_b32 s8, s8
; %bb.713:                              ;   in Loop: Header=BB4_530 Depth=2
	s_delay_alu instid0(VALU_DEP_1)
	v_bfe_u32 v17, v18, 23, 1
; %bb.714:                              ;   in Loop: Header=BB4_530 Depth=2
	s_or_b32 exec_lo, exec_lo, s8
	v_lshrrev_b32_e32 v18, 21, v18
	s_delay_alu instid0(VALU_DEP_2) | instskip(SKIP_2) | instid1(VALU_DEP_2)
	v_cmp_gt_i32_e32 vcc_lo, 32, v17
	v_min_i32_e32 v133, 31, v17
	v_lshrrev_b32_e32 v132, 24, v134
	v_dual_cndmask_b32 v18, 3, v18 :: v_dual_lshlrev_b32 v133, 2, v133
	s_delay_alu instid0(VALU_DEP_1) | instskip(SKIP_1) | instid1(VALU_DEP_2)
	v_or_b32_e32 v17, v17, v18
	v_and_b32_e32 v134, 3, v18
	v_cmp_ne_u32_e32 vcc_lo, 0, v17
	v_and_b32_e32 v132, 0x80, v132
	s_delay_alu instid0(VALU_DEP_1) | instskip(NEXT) | instid1(VALU_DEP_1)
	v_or3_b32 v18, v133, v132, v134
	v_cndmask_b32_e32 v17, 0, v18, vcc_lo
.LBB4_715:                              ;   in Loop: Header=BB4_530 Depth=2
	s_or_b32 exec_lo, exec_lo, s19
.LBB4_716:                              ;   in Loop: Header=BB4_530 Depth=2
	s_delay_alu instid0(SALU_CYCLE_1) | instskip(SKIP_3) | instid1(SALU_CYCLE_1)
	s_or_b32 exec_lo, exec_lo, s9
	v_lshrrev_b32_e32 v132, 16, v19
	v_lshrrev_b32_e32 v18, 16, v87
                                        ; implicit-def: $vgpr133
	s_and_saveexec_b32 s8, s6
	s_xor_b32 s8, exec_lo, s8
	s_cbranch_execz .LBB4_726
; %bb.717:                              ;   in Loop: Header=BB4_530 Depth=2
	v_and_b32_e32 v134, 0xff, v132
	s_mov_b32 s9, 0
	s_mov_b32 s20, exec_lo
                                        ; implicit-def: $sgpr19
	s_delay_alu instid0(VALU_DEP_1)
	v_cmpx_lt_i16_e64 0x7f, v134
	s_xor_b32 s20, exec_lo, s20
	s_cbranch_execnz .LBB4_886
; %bb.718:                              ;   in Loop: Header=BB4_530 Depth=2
	s_or_saveexec_b32 s20, s20
	v_mov_b32_e32 v133, s19
	s_xor_b32 exec_lo, exec_lo, s20
	s_cbranch_execnz .LBB4_889
.LBB4_719:                              ;   in Loop: Header=BB4_530 Depth=2
	s_or_b32 exec_lo, exec_lo, s20
	s_and_saveexec_b32 s19, s9
	s_cbranch_execz .LBB4_721
.LBB4_720:                              ;   in Loop: Header=BB4_530 Depth=2
	v_bfe_u32 v133, v19, 16, 2
	v_bfe_u32 v144, v19, 18, 5
	s_delay_alu instid0(VALU_DEP_2) | instskip(NEXT) | instid1(VALU_DEP_2)
	v_clz_i32_u32_e32 v134, v133
	v_cmp_eq_u32_e32 vcc_lo, 0, v144
	s_delay_alu instid0(VALU_DEP_2) | instskip(NEXT) | instid1(VALU_DEP_1)
	v_min_u32_e32 v134, 32, v134
	v_subrev_nc_u32_e32 v135, 29, v134
	v_sub_nc_u32_e32 v134, 30, v134
	s_delay_alu instid0(VALU_DEP_1) | instskip(NEXT) | instid1(VALU_DEP_1)
	v_dual_cndmask_b32 v134, v144, v134 :: v_dual_lshlrev_b32 v135, v135, v132
	v_and_b32_e32 v135, 3, v135
	v_lshlrev_b32_e32 v132, 24, v132
	s_delay_alu instid0(VALU_DEP_3) | instskip(NEXT) | instid1(VALU_DEP_2)
	v_lshl_add_u32 v134, v134, 23, 0x37800000
	v_dual_cndmask_b32 v133, v133, v135 :: v_dual_and_b32 v132, 0x80000000, v132
	s_delay_alu instid0(VALU_DEP_1) | instskip(NEXT) | instid1(VALU_DEP_1)
	v_lshlrev_b32_e32 v133, 21, v133
	v_or3_b32 v133, v132, v134, v133
.LBB4_721:                              ;   in Loop: Header=BB4_530 Depth=2
	s_or_b32 exec_lo, exec_lo, s19
	v_and_b32_e32 v134, 0xff, v18
	s_mov_b32 s9, 0
	s_mov_b32 s20, exec_lo
                                        ; implicit-def: $sgpr19
	s_delay_alu instid0(VALU_DEP_1)
	v_cmpx_lt_i16_e64 0x7f, v134
	s_xor_b32 s20, exec_lo, s20
	s_cbranch_execnz .LBB4_890
; %bb.722:                              ;   in Loop: Header=BB4_530 Depth=2
	s_or_saveexec_b32 s20, s20
	v_mov_b32_e32 v132, s19
	s_xor_b32 exec_lo, exec_lo, s20
	s_cbranch_execnz .LBB4_893
.LBB4_723:                              ;   in Loop: Header=BB4_530 Depth=2
	s_or_b32 exec_lo, exec_lo, s20
	s_and_saveexec_b32 s19, s9
	s_cbranch_execz .LBB4_725
.LBB4_724:                              ;   in Loop: Header=BB4_530 Depth=2
	v_bfe_u32 v132, v87, 16, 2
	v_bfe_u32 v144, v87, 18, 5
	s_delay_alu instid0(VALU_DEP_2) | instskip(NEXT) | instid1(VALU_DEP_2)
	v_clz_i32_u32_e32 v134, v132
	v_cmp_eq_u32_e32 vcc_lo, 0, v144
	s_delay_alu instid0(VALU_DEP_2) | instskip(NEXT) | instid1(VALU_DEP_1)
	v_min_u32_e32 v134, 32, v134
	v_subrev_nc_u32_e32 v135, 29, v134
	v_sub_nc_u32_e32 v134, 30, v134
	s_delay_alu instid0(VALU_DEP_2) | instskip(SKIP_1) | instid1(VALU_DEP_2)
	v_lshlrev_b32_e32 v135, v135, v18
	v_lshlrev_b32_e32 v18, 24, v18
	v_dual_cndmask_b32 v134, v144, v134 :: v_dual_and_b32 v135, 3, v135
	s_delay_alu instid0(VALU_DEP_2) | instskip(NEXT) | instid1(VALU_DEP_2)
	v_and_b32_e32 v18, 0x80000000, v18
	v_lshl_add_u32 v134, v134, 23, 0x37800000
	s_delay_alu instid0(VALU_DEP_3) | instskip(NEXT) | instid1(VALU_DEP_1)
	v_cndmask_b32_e32 v132, v132, v135, vcc_lo
	v_lshlrev_b32_e32 v132, 21, v132
	s_delay_alu instid0(VALU_DEP_1)
	v_or3_b32 v132, v18, v134, v132
.LBB4_725:                              ;   in Loop: Header=BB4_530 Depth=2
	s_or_b32 exec_lo, exec_lo, s19
	s_delay_alu instid0(VALU_DEP_1) | instskip(SKIP_1) | instid1(VALU_DEP_1)
	v_max_f32_e32 v18, v132, v132
	v_max_f32_e32 v132, v133, v133
	;; [unrolled: 1-line block ×3, first 2 shown]
                                        ; implicit-def: $vgpr18
                                        ; implicit-def: $vgpr132
.LBB4_726:                              ;   in Loop: Header=BB4_530 Depth=2
	s_and_not1_saveexec_b32 s8, s8
	s_cbranch_execz .LBB4_736
; %bb.727:                              ;   in Loop: Header=BB4_530 Depth=2
	v_and_b32_e32 v134, 0xff, v132
	s_mov_b32 s9, 0
	s_mov_b32 s20, exec_lo
                                        ; implicit-def: $sgpr19
	s_delay_alu instid0(VALU_DEP_1)
	v_cmpx_lt_i16_e64 0x7f, v134
	s_xor_b32 s20, exec_lo, s20
	s_cbranch_execnz .LBB4_894
; %bb.728:                              ;   in Loop: Header=BB4_530 Depth=2
	s_or_saveexec_b32 s20, s20
	v_mov_b32_e32 v133, s19
	s_xor_b32 exec_lo, exec_lo, s20
	s_cbranch_execnz .LBB4_897
.LBB4_729:                              ;   in Loop: Header=BB4_530 Depth=2
	s_or_b32 exec_lo, exec_lo, s20
	s_and_saveexec_b32 s19, s9
	s_cbranch_execz .LBB4_731
.LBB4_730:                              ;   in Loop: Header=BB4_530 Depth=2
	v_bfe_u32 v133, v19, 16, 2
	v_bfe_u32 v144, v19, 18, 5
	s_delay_alu instid0(VALU_DEP_2) | instskip(NEXT) | instid1(VALU_DEP_2)
	v_clz_i32_u32_e32 v134, v133
	v_cmp_eq_u32_e32 vcc_lo, 0, v144
	s_delay_alu instid0(VALU_DEP_2) | instskip(NEXT) | instid1(VALU_DEP_1)
	v_min_u32_e32 v134, 32, v134
	v_subrev_nc_u32_e32 v135, 29, v134
	v_sub_nc_u32_e32 v134, 30, v134
	s_delay_alu instid0(VALU_DEP_1) | instskip(NEXT) | instid1(VALU_DEP_1)
	v_dual_cndmask_b32 v134, v144, v134 :: v_dual_lshlrev_b32 v135, v135, v132
	v_and_b32_e32 v135, 3, v135
	v_lshlrev_b32_e32 v132, 24, v132
	s_delay_alu instid0(VALU_DEP_3) | instskip(NEXT) | instid1(VALU_DEP_2)
	v_lshl_add_u32 v134, v134, 23, 0x37800000
	v_dual_cndmask_b32 v133, v133, v135 :: v_dual_and_b32 v132, 0x80000000, v132
	s_delay_alu instid0(VALU_DEP_1) | instskip(NEXT) | instid1(VALU_DEP_1)
	v_lshlrev_b32_e32 v133, 21, v133
	v_or3_b32 v133, v132, v134, v133
.LBB4_731:                              ;   in Loop: Header=BB4_530 Depth=2
	s_or_b32 exec_lo, exec_lo, s19
	v_and_b32_e32 v134, 0xff, v18
	s_mov_b32 s9, 0
	s_mov_b32 s20, exec_lo
                                        ; implicit-def: $sgpr19
	s_delay_alu instid0(VALU_DEP_1)
	v_cmpx_lt_i16_e64 0x7f, v134
	s_xor_b32 s20, exec_lo, s20
	s_cbranch_execnz .LBB4_898
; %bb.732:                              ;   in Loop: Header=BB4_530 Depth=2
	s_or_saveexec_b32 s20, s20
	v_mov_b32_e32 v132, s19
	s_xor_b32 exec_lo, exec_lo, s20
	s_cbranch_execnz .LBB4_901
.LBB4_733:                              ;   in Loop: Header=BB4_530 Depth=2
	s_or_b32 exec_lo, exec_lo, s20
	s_and_saveexec_b32 s19, s9
	s_cbranch_execz .LBB4_735
.LBB4_734:                              ;   in Loop: Header=BB4_530 Depth=2
	v_bfe_u32 v132, v87, 16, 2
	v_bfe_u32 v144, v87, 18, 5
	s_delay_alu instid0(VALU_DEP_2) | instskip(NEXT) | instid1(VALU_DEP_2)
	v_clz_i32_u32_e32 v134, v132
	v_cmp_eq_u32_e32 vcc_lo, 0, v144
	s_delay_alu instid0(VALU_DEP_2) | instskip(NEXT) | instid1(VALU_DEP_1)
	v_min_u32_e32 v134, 32, v134
	v_subrev_nc_u32_e32 v135, 29, v134
	v_sub_nc_u32_e32 v134, 30, v134
	s_delay_alu instid0(VALU_DEP_2) | instskip(SKIP_1) | instid1(VALU_DEP_2)
	v_lshlrev_b32_e32 v135, v135, v18
	v_lshlrev_b32_e32 v18, 24, v18
	v_dual_cndmask_b32 v134, v144, v134 :: v_dual_and_b32 v135, 3, v135
	s_delay_alu instid0(VALU_DEP_2) | instskip(NEXT) | instid1(VALU_DEP_2)
	v_and_b32_e32 v18, 0x80000000, v18
	v_lshl_add_u32 v134, v134, 23, 0x37800000
	s_delay_alu instid0(VALU_DEP_3) | instskip(NEXT) | instid1(VALU_DEP_1)
	v_cndmask_b32_e32 v132, v132, v135, vcc_lo
	v_lshlrev_b32_e32 v132, 21, v132
	s_delay_alu instid0(VALU_DEP_1)
	v_or3_b32 v132, v18, v134, v132
.LBB4_735:                              ;   in Loop: Header=BB4_530 Depth=2
	s_or_b32 exec_lo, exec_lo, s19
	s_delay_alu instid0(VALU_DEP_1) | instskip(SKIP_1) | instid1(VALU_DEP_1)
	v_max_f32_e32 v18, v132, v132
	v_max_f32_e32 v132, v133, v133
	v_min_f32_e32 v133, v132, v18
.LBB4_736:                              ;   in Loop: Header=BB4_530 Depth=2
	s_or_b32 exec_lo, exec_lo, s8
	s_delay_alu instid0(VALU_DEP_1) | instskip(SKIP_2) | instid1(VALU_DEP_2)
	v_and_b32_e32 v18, 0x7f800000, v133
	v_mov_b32_e32 v132, 0x80
	s_mov_b32 s9, exec_lo
	v_cmpx_ne_u32_e32 0x7f800000, v18
	s_cbranch_execz .LBB4_744
; %bb.737:                              ;   in Loop: Header=BB4_530 Depth=2
	v_mov_b32_e32 v132, 0
	s_mov_b32 s19, exec_lo
	v_cmpx_ne_u32_e32 0, v133
	s_cbranch_execz .LBB4_743
; %bb.738:                              ;   in Loop: Header=BB4_530 Depth=2
	v_bfe_u32 v18, v133, 23, 8
	v_and_b32_e32 v132, 0x7fffff, v133
	s_delay_alu instid0(VALU_DEP_2) | instskip(SKIP_1) | instid1(VALU_DEP_3)
	v_sub_nc_u32_e32 v134, 0x70, v18
	v_cmp_gt_u32_e32 vcc_lo, 0x71, v18
	v_or_b32_e32 v135, 0x800000, v132
	s_delay_alu instid0(VALU_DEP_3) | instskip(SKIP_2) | instid1(VALU_DEP_3)
	v_cndmask_b32_e32 v134, 0, v134, vcc_lo
	v_cmp_eq_u32_e32 vcc_lo, 0, v18
	v_add_nc_u32_e32 v18, 0xffffff91, v18
	v_cndmask_b32_e64 v134, v134, 0x6f, vcc_lo
	v_cndmask_b32_e32 v132, v135, v132, vcc_lo
	s_delay_alu instid0(VALU_DEP_3) | instskip(NEXT) | instid1(VALU_DEP_3)
	v_cndmask_b32_e64 v18, v18, 0xffffff92, vcc_lo
	v_lshl_add_u32 v135, 0x200000, v134, -1
	s_delay_alu instid0(VALU_DEP_3) | instskip(SKIP_1) | instid1(VALU_DEP_4)
	v_lshrrev_b32_e32 v144, v134, v132
	v_lshlrev_b32_e64 v146, v134, 0x100000
	v_add_nc_u32_e32 v134, v134, v18
	s_delay_alu instid0(VALU_DEP_4) | instskip(NEXT) | instid1(VALU_DEP_4)
	v_and_b32_e32 v132, v135, v132
	v_bfe_u32 v145, v144, 21, 1
	s_delay_alu instid0(VALU_DEP_2) | instskip(NEXT) | instid1(VALU_DEP_2)
	v_cmp_eq_u32_e64 s8, v132, v146
	v_add_nc_u32_e32 v135, -1, v145
	s_delay_alu instid0(VALU_DEP_1) | instskip(SKIP_2) | instid1(VALU_DEP_2)
	v_cndmask_b32_e64 v132, 0, v135, s8
	v_lshrrev_b32_e32 v135, 23, v144
	s_mov_b32 s8, exec_lo
	v_add_nc_u32_e32 v132, v132, v144
	s_delay_alu instid0(VALU_DEP_2) | instskip(NEXT) | instid1(VALU_DEP_2)
	v_xor_b32_e32 v135, 1, v135
	v_and_b32_e32 v18, 0x1fffff, v132
	s_delay_alu instid0(VALU_DEP_1) | instskip(NEXT) | instid1(VALU_DEP_3)
	v_add_nc_u32_e32 v132, v18, v144
                                        ; implicit-def: $vgpr18
	v_cmpx_ne_u32_e64 v134, v135
	s_xor_b32 s8, exec_lo, s8
; %bb.739:                              ;   in Loop: Header=BB4_530 Depth=2
	s_delay_alu instid0(VALU_DEP_2) | instskip(SKIP_2) | instid1(VALU_DEP_2)
	v_cmp_lt_u32_e32 vcc_lo, 0xffffff, v132
	v_sub_nc_u32_e32 v18, v134, v135
	v_cndmask_b32_e64 v134, 0, 1, vcc_lo
	v_add_co_ci_u32_e32 v18, vcc_lo, 0, v18, vcc_lo
	s_delay_alu instid0(VALU_DEP_2)
	v_lshrrev_b32_e32 v132, v134, v132
; %bb.740:                              ;   in Loop: Header=BB4_530 Depth=2
	s_and_not1_saveexec_b32 s8, s8
; %bb.741:                              ;   in Loop: Header=BB4_530 Depth=2
	s_delay_alu instid0(VALU_DEP_1)
	v_bfe_u32 v18, v132, 23, 1
; %bb.742:                              ;   in Loop: Header=BB4_530 Depth=2
	s_or_b32 exec_lo, exec_lo, s8
	v_lshrrev_b32_e32 v132, 21, v132
	s_delay_alu instid0(VALU_DEP_2) | instskip(SKIP_2) | instid1(VALU_DEP_3)
	v_min_i32_e32 v134, 31, v18
	v_cmp_gt_i32_e32 vcc_lo, 32, v18
	v_lshrrev_b32_e32 v133, 24, v133
	v_lshlrev_b32_e32 v134, 2, v134
	s_delay_alu instid0(VALU_DEP_2) | instskip(NEXT) | instid1(VALU_DEP_2)
	v_dual_cndmask_b32 v132, 3, v132 :: v_dual_and_b32 v133, 0x80, v133
	v_and_b32_e32 v134, 0xfc, v134
	s_delay_alu instid0(VALU_DEP_2) | instskip(SKIP_1) | instid1(VALU_DEP_2)
	v_and_b32_e32 v135, 3, v132
	v_or_b32_e32 v18, v18, v132
	v_or3_b32 v132, v134, v133, v135
	s_delay_alu instid0(VALU_DEP_2) | instskip(NEXT) | instid1(VALU_DEP_2)
	v_cmp_ne_u32_e32 vcc_lo, 0, v18
	v_cndmask_b32_e32 v132, 0, v132, vcc_lo
.LBB4_743:                              ;   in Loop: Header=BB4_530 Depth=2
	s_or_b32 exec_lo, exec_lo, s19
.LBB4_744:                              ;   in Loop: Header=BB4_530 Depth=2
	s_delay_alu instid0(SALU_CYCLE_1) | instskip(SKIP_3) | instid1(SALU_CYCLE_1)
	s_or_b32 exec_lo, exec_lo, s9
	v_lshrrev_b32_e32 v18, 24, v19
	v_lshrrev_b32_e32 v133, 24, v87
                                        ; implicit-def: $vgpr134
	s_and_saveexec_b32 s8, s6
	s_xor_b32 s8, exec_lo, s8
	s_cbranch_execz .LBB4_754
; %bb.745:                              ;   in Loop: Header=BB4_530 Depth=2
	s_mov_b32 s9, 0
	s_mov_b32 s20, exec_lo
                                        ; implicit-def: $sgpr19
	v_cmpx_lt_i16_e32 0x7f, v18
	s_xor_b32 s20, exec_lo, s20
	s_cbranch_execnz .LBB4_902
; %bb.746:                              ;   in Loop: Header=BB4_530 Depth=2
	s_or_saveexec_b32 s20, s20
	v_mov_b32_e32 v134, s19
	s_xor_b32 exec_lo, exec_lo, s20
	s_cbranch_execnz .LBB4_905
.LBB4_747:                              ;   in Loop: Header=BB4_530 Depth=2
	s_or_b32 exec_lo, exec_lo, s20
	s_and_saveexec_b32 s19, s9
	s_cbranch_execz .LBB4_749
.LBB4_748:                              ;   in Loop: Header=BB4_530 Depth=2
	v_bfe_u32 v134, v19, 24, 2
	s_delay_alu instid0(VALU_DEP_1) | instskip(NEXT) | instid1(VALU_DEP_1)
	v_clz_i32_u32_e32 v135, v134
	v_min_u32_e32 v135, 32, v135
	s_delay_alu instid0(VALU_DEP_1) | instskip(SKIP_1) | instid1(VALU_DEP_2)
	v_subrev_nc_u32_e32 v144, 29, v135
	v_sub_nc_u32_e32 v135, 30, v135
	v_lshlrev_b32_e32 v18, v144, v18
	v_bfe_u32 v144, v19, 26, 5
	v_and_b32_e32 v19, 0x80000000, v19
	s_delay_alu instid0(VALU_DEP_2) | instskip(NEXT) | instid1(VALU_DEP_4)
	v_cmp_eq_u32_e32 vcc_lo, 0, v144
	v_dual_cndmask_b32 v135, v144, v135 :: v_dual_and_b32 v18, 3, v18
	s_delay_alu instid0(VALU_DEP_1) | instskip(NEXT) | instid1(VALU_DEP_2)
	v_cndmask_b32_e32 v18, v134, v18, vcc_lo
	v_lshl_add_u32 v134, v135, 23, 0x37800000
	s_delay_alu instid0(VALU_DEP_2) | instskip(NEXT) | instid1(VALU_DEP_1)
	v_lshlrev_b32_e32 v18, 21, v18
	v_or3_b32 v134, v19, v134, v18
.LBB4_749:                              ;   in Loop: Header=BB4_530 Depth=2
	s_or_b32 exec_lo, exec_lo, s19
	s_mov_b32 s9, 0
	s_mov_b32 s20, exec_lo
                                        ; implicit-def: $sgpr19
	v_cmpx_lt_i16_e64 0x7f, v133
	s_xor_b32 s20, exec_lo, s20
	s_cbranch_execnz .LBB4_906
; %bb.750:                              ;   in Loop: Header=BB4_530 Depth=2
	s_or_saveexec_b32 s20, s20
	v_mov_b32_e32 v18, s19
	s_xor_b32 exec_lo, exec_lo, s20
	s_cbranch_execnz .LBB4_909
.LBB4_751:                              ;   in Loop: Header=BB4_530 Depth=2
	s_or_b32 exec_lo, exec_lo, s20
	s_and_saveexec_b32 s19, s9
	s_cbranch_execz .LBB4_753
.LBB4_752:                              ;   in Loop: Header=BB4_530 Depth=2
	v_bfe_u32 v18, v87, 24, 2
	s_delay_alu instid0(VALU_DEP_1) | instskip(NEXT) | instid1(VALU_DEP_1)
	v_clz_i32_u32_e32 v19, v18
	v_min_u32_e32 v19, 32, v19
	s_delay_alu instid0(VALU_DEP_1) | instskip(SKIP_1) | instid1(VALU_DEP_2)
	v_subrev_nc_u32_e32 v135, 29, v19
	v_sub_nc_u32_e32 v19, 30, v19
	v_lshlrev_b32_e32 v133, v135, v133
	v_bfe_u32 v135, v87, 26, 5
	v_and_b32_e32 v87, 0x80000000, v87
	s_delay_alu instid0(VALU_DEP_3) | instskip(NEXT) | instid1(VALU_DEP_3)
	v_and_b32_e32 v133, 3, v133
	v_cmp_eq_u32_e32 vcc_lo, 0, v135
	s_delay_alu instid0(VALU_DEP_2) | instskip(NEXT) | instid1(VALU_DEP_1)
	v_dual_cndmask_b32 v19, v135, v19 :: v_dual_cndmask_b32 v18, v18, v133
	v_lshl_add_u32 v19, v19, 23, 0x37800000
	s_delay_alu instid0(VALU_DEP_2) | instskip(NEXT) | instid1(VALU_DEP_1)
	v_lshlrev_b32_e32 v18, 21, v18
	v_or3_b32 v18, v87, v19, v18
.LBB4_753:                              ;   in Loop: Header=BB4_530 Depth=2
	s_or_b32 exec_lo, exec_lo, s19
	s_delay_alu instid0(VALU_DEP_1) | instskip(SKIP_1) | instid1(VALU_DEP_1)
	v_max_f32_e32 v18, v18, v18
	v_max_f32_e32 v19, v134, v134
                                        ; implicit-def: $vgpr87
                                        ; implicit-def: $vgpr133
	v_max_f32_e32 v134, v19, v18
                                        ; implicit-def: $vgpr18_vgpr19
                                        ; implicit-def: $vgpr18
.LBB4_754:                              ;   in Loop: Header=BB4_530 Depth=2
	s_and_not1_saveexec_b32 s8, s8
	s_cbranch_execz .LBB4_764
; %bb.755:                              ;   in Loop: Header=BB4_530 Depth=2
	s_mov_b32 s9, 0
	s_mov_b32 s20, exec_lo
                                        ; implicit-def: $sgpr19
	v_cmpx_lt_i16_e32 0x7f, v18
	s_xor_b32 s20, exec_lo, s20
	s_cbranch_execnz .LBB4_910
; %bb.756:                              ;   in Loop: Header=BB4_530 Depth=2
	s_or_saveexec_b32 s20, s20
	v_mov_b32_e32 v134, s19
	s_xor_b32 exec_lo, exec_lo, s20
	s_cbranch_execnz .LBB4_913
.LBB4_757:                              ;   in Loop: Header=BB4_530 Depth=2
	s_or_b32 exec_lo, exec_lo, s20
	s_and_saveexec_b32 s19, s9
	s_cbranch_execz .LBB4_759
.LBB4_758:                              ;   in Loop: Header=BB4_530 Depth=2
	v_bfe_u32 v134, v19, 24, 2
	s_delay_alu instid0(VALU_DEP_1) | instskip(NEXT) | instid1(VALU_DEP_1)
	v_clz_i32_u32_e32 v135, v134
	v_min_u32_e32 v135, 32, v135
	s_delay_alu instid0(VALU_DEP_1) | instskip(SKIP_1) | instid1(VALU_DEP_2)
	v_subrev_nc_u32_e32 v144, 29, v135
	v_sub_nc_u32_e32 v135, 30, v135
	v_lshlrev_b32_e32 v18, v144, v18
	v_bfe_u32 v144, v19, 26, 5
	v_and_b32_e32 v19, 0x80000000, v19
	s_delay_alu instid0(VALU_DEP_2) | instskip(NEXT) | instid1(VALU_DEP_4)
	v_cmp_eq_u32_e32 vcc_lo, 0, v144
	v_dual_cndmask_b32 v135, v144, v135 :: v_dual_and_b32 v18, 3, v18
	s_delay_alu instid0(VALU_DEP_1) | instskip(NEXT) | instid1(VALU_DEP_2)
	v_cndmask_b32_e32 v18, v134, v18, vcc_lo
	v_lshl_add_u32 v134, v135, 23, 0x37800000
	s_delay_alu instid0(VALU_DEP_2) | instskip(NEXT) | instid1(VALU_DEP_1)
	v_lshlrev_b32_e32 v18, 21, v18
	v_or3_b32 v134, v19, v134, v18
.LBB4_759:                              ;   in Loop: Header=BB4_530 Depth=2
	s_or_b32 exec_lo, exec_lo, s19
	s_mov_b32 s9, 0
	s_mov_b32 s20, exec_lo
                                        ; implicit-def: $sgpr19
	v_cmpx_lt_i16_e64 0x7f, v133
	s_xor_b32 s20, exec_lo, s20
	s_cbranch_execnz .LBB4_914
; %bb.760:                              ;   in Loop: Header=BB4_530 Depth=2
	s_or_saveexec_b32 s20, s20
	v_mov_b32_e32 v18, s19
	s_xor_b32 exec_lo, exec_lo, s20
	s_cbranch_execnz .LBB4_917
.LBB4_761:                              ;   in Loop: Header=BB4_530 Depth=2
	s_or_b32 exec_lo, exec_lo, s20
	s_and_saveexec_b32 s19, s9
	s_cbranch_execz .LBB4_763
.LBB4_762:                              ;   in Loop: Header=BB4_530 Depth=2
	v_bfe_u32 v18, v87, 24, 2
	s_delay_alu instid0(VALU_DEP_1) | instskip(NEXT) | instid1(VALU_DEP_1)
	v_clz_i32_u32_e32 v19, v18
	v_min_u32_e32 v19, 32, v19
	s_delay_alu instid0(VALU_DEP_1) | instskip(SKIP_1) | instid1(VALU_DEP_2)
	v_subrev_nc_u32_e32 v135, 29, v19
	v_sub_nc_u32_e32 v19, 30, v19
	v_lshlrev_b32_e32 v133, v135, v133
	v_bfe_u32 v135, v87, 26, 5
	v_and_b32_e32 v87, 0x80000000, v87
	s_delay_alu instid0(VALU_DEP_3) | instskip(NEXT) | instid1(VALU_DEP_3)
	v_and_b32_e32 v133, 3, v133
	v_cmp_eq_u32_e32 vcc_lo, 0, v135
	s_delay_alu instid0(VALU_DEP_2) | instskip(NEXT) | instid1(VALU_DEP_1)
	v_dual_cndmask_b32 v19, v135, v19 :: v_dual_cndmask_b32 v18, v18, v133
	v_lshl_add_u32 v19, v19, 23, 0x37800000
	s_delay_alu instid0(VALU_DEP_2) | instskip(NEXT) | instid1(VALU_DEP_1)
	v_lshlrev_b32_e32 v18, 21, v18
	v_or3_b32 v18, v87, v19, v18
.LBB4_763:                              ;   in Loop: Header=BB4_530 Depth=2
	s_or_b32 exec_lo, exec_lo, s19
	s_delay_alu instid0(VALU_DEP_1) | instskip(SKIP_1) | instid1(VALU_DEP_1)
	v_max_f32_e32 v18, v18, v18
	v_max_f32_e32 v19, v134, v134
	v_min_f32_e32 v134, v19, v18
.LBB4_764:                              ;   in Loop: Header=BB4_530 Depth=2
	s_or_b32 exec_lo, exec_lo, s8
	s_delay_alu instid0(VALU_DEP_1) | instskip(NEXT) | instid1(VALU_DEP_1)
	v_and_b32_e32 v18, 0x7f800000, v134
	v_cmp_ne_u32_e32 vcc_lo, 0x7f800000, v18
	v_mov_b32_e32 v18, 0x8000
	s_and_saveexec_b32 s9, vcc_lo
	s_cbranch_execz .LBB4_772
; %bb.765:                              ;   in Loop: Header=BB4_530 Depth=2
	v_mov_b32_e32 v18, 0
	s_mov_b32 s19, exec_lo
	v_cmpx_ne_u32_e32 0, v134
	s_cbranch_execz .LBB4_771
; %bb.766:                              ;   in Loop: Header=BB4_530 Depth=2
	v_bfe_u32 v18, v134, 23, 8
	v_and_b32_e32 v19, 0x7fffff, v134
	s_delay_alu instid0(VALU_DEP_2) | instskip(SKIP_1) | instid1(VALU_DEP_3)
	v_sub_nc_u32_e32 v87, 0x70, v18
	v_cmp_gt_u32_e32 vcc_lo, 0x71, v18
	v_or_b32_e32 v133, 0x800000, v19
	s_delay_alu instid0(VALU_DEP_3) | instskip(SKIP_2) | instid1(VALU_DEP_3)
	v_cndmask_b32_e32 v87, 0, v87, vcc_lo
	v_cmp_eq_u32_e32 vcc_lo, 0, v18
	v_add_nc_u32_e32 v18, 0xffffff91, v18
	v_cndmask_b32_e64 v87, v87, 0x6f, vcc_lo
	v_cndmask_b32_e32 v19, v133, v19, vcc_lo
	s_delay_alu instid0(VALU_DEP_3) | instskip(NEXT) | instid1(VALU_DEP_3)
	v_cndmask_b32_e64 v18, v18, 0xffffff92, vcc_lo
	v_lshl_add_u32 v133, 0x200000, v87, -1
	s_delay_alu instid0(VALU_DEP_3) | instskip(SKIP_1) | instid1(VALU_DEP_4)
	v_lshrrev_b32_e32 v135, v87, v19
	v_lshlrev_b32_e64 v145, v87, 0x100000
	v_add_nc_u32_e32 v87, v87, v18
	s_delay_alu instid0(VALU_DEP_4) | instskip(NEXT) | instid1(VALU_DEP_4)
	v_and_b32_e32 v19, v133, v19
	v_bfe_u32 v144, v135, 21, 1
	s_delay_alu instid0(VALU_DEP_2) | instskip(NEXT) | instid1(VALU_DEP_2)
	v_cmp_eq_u32_e64 s8, v19, v145
	v_add_nc_u32_e32 v133, -1, v144
	s_delay_alu instid0(VALU_DEP_1) | instskip(SKIP_2) | instid1(VALU_DEP_2)
	v_cndmask_b32_e64 v19, 0, v133, s8
	v_lshrrev_b32_e32 v133, 23, v135
	s_mov_b32 s8, exec_lo
	v_add_nc_u32_e32 v19, v19, v135
	s_delay_alu instid0(VALU_DEP_2) | instskip(NEXT) | instid1(VALU_DEP_2)
	v_xor_b32_e32 v133, 1, v133
	v_and_b32_e32 v18, 0x1fffff, v19
	s_delay_alu instid0(VALU_DEP_1) | instskip(NEXT) | instid1(VALU_DEP_3)
	v_add_nc_u32_e32 v19, v18, v135
                                        ; implicit-def: $vgpr18
	v_cmpx_ne_u32_e64 v87, v133
	s_xor_b32 s8, exec_lo, s8
; %bb.767:                              ;   in Loop: Header=BB4_530 Depth=2
	s_delay_alu instid0(VALU_DEP_2) | instskip(SKIP_2) | instid1(VALU_DEP_2)
	v_cmp_lt_u32_e32 vcc_lo, 0xffffff, v19
	v_sub_nc_u32_e32 v18, v87, v133
	v_cndmask_b32_e64 v87, 0, 1, vcc_lo
	v_add_co_ci_u32_e32 v18, vcc_lo, 0, v18, vcc_lo
	s_delay_alu instid0(VALU_DEP_2)
	v_lshrrev_b32_e32 v19, v87, v19
; %bb.768:                              ;   in Loop: Header=BB4_530 Depth=2
	s_and_not1_saveexec_b32 s8, s8
; %bb.769:                              ;   in Loop: Header=BB4_530 Depth=2
	s_delay_alu instid0(VALU_DEP_1)
	v_bfe_u32 v18, v19, 23, 1
; %bb.770:                              ;   in Loop: Header=BB4_530 Depth=2
	s_or_b32 exec_lo, exec_lo, s8
	v_lshrrev_b32_e32 v19, 21, v19
	s_delay_alu instid0(VALU_DEP_2) | instskip(SKIP_2) | instid1(VALU_DEP_4)
	v_cmp_gt_i32_e32 vcc_lo, 32, v18
	v_min_i32_e32 v87, 31, v18
	v_lshrrev_b32_e32 v133, 24, v134
	v_cndmask_b32_e32 v19, 3, v19, vcc_lo
	s_delay_alu instid0(VALU_DEP_3) | instskip(NEXT) | instid1(VALU_DEP_2)
	v_lshlrev_b32_e32 v87, 2, v87
	v_or_b32_e32 v18, v18, v19
	v_and_b32_e32 v134, 3, v19
	s_delay_alu instid0(VALU_DEP_3) | instskip(NEXT) | instid1(VALU_DEP_3)
	v_and_b32_e32 v87, 0xfc, v87
	v_cmp_ne_u32_e32 vcc_lo, 0, v18
	v_and_b32_e32 v133, 0x80, v133
	s_delay_alu instid0(VALU_DEP_1) | instskip(NEXT) | instid1(VALU_DEP_1)
	v_or3_b32 v87, v133, v87, v134
	v_lshlrev_b32_e32 v19, 8, v87
	s_delay_alu instid0(VALU_DEP_1)
	v_cndmask_b32_e32 v18, 0, v19, vcc_lo
.LBB4_771:                              ;   in Loop: Header=BB4_530 Depth=2
	s_or_b32 exec_lo, exec_lo, s19
.LBB4_772:                              ;   in Loop: Header=BB4_530 Depth=2
	s_delay_alu instid0(SALU_CYCLE_1) | instskip(SKIP_1) | instid1(VALU_DEP_2)
	s_or_b32 exec_lo, exec_lo, s9
	v_cmp_lt_u32_e32 vcc_lo, 7, v131
	v_or_b32_e32 v18, v18, v132
	v_cndmask_b32_e64 v19, 0, 1, vcc_lo
	;;#ASMSTART
	;;#ASMEND
	s_delay_alu instid0(VALU_DEP_1) | instskip(NEXT) | instid1(VALU_DEP_1)
	v_cmp_ne_u32_e64 s8, 0, v19
	s_cmp_lg_u32 s8, exec_lo
	s_mov_b32 s8, -1
	s_cbranch_scc0 .LBB4_788
; %bb.773:                              ;   in Loop: Header=BB4_530 Depth=2
	s_mov_b32 s9, exec_lo
	flat_store_b8 v[70:71], v20
	v_cmpx_ne_u32_e32 1, v131
	s_cbranch_execz .LBB4_775
; %bb.774:                              ;   in Loop: Header=BB4_530 Depth=2
	flat_store_b8 v[70:71], v81 offset:1
.LBB4_775:                              ;   in Loop: Header=BB4_530 Depth=2
	s_or_b32 exec_lo, exec_lo, s9
	s_delay_alu instid0(SALU_CYCLE_1)
	s_mov_b32 s9, exec_lo
	v_cmpx_lt_u32_e32 2, v131
	s_cbranch_execz .LBB4_777
; %bb.776:                              ;   in Loop: Header=BB4_530 Depth=2
	flat_store_b8 v[70:71], v82 offset:2
.LBB4_777:                              ;   in Loop: Header=BB4_530 Depth=2
	s_or_b32 exec_lo, exec_lo, s9
	s_delay_alu instid0(SALU_CYCLE_1)
	s_mov_b32 s9, exec_lo
	v_cmpx_lt_u32_e32 3, v131
	;; [unrolled: 8-line block ×5, first 2 shown]
	s_cbranch_execz .LBB4_785
; %bb.784:                              ;   in Loop: Header=BB4_530 Depth=2
	flat_store_b8 v[70:71], v18 offset:6
.LBB4_785:                              ;   in Loop: Header=BB4_530 Depth=2
	s_or_b32 exec_lo, exec_lo, s9
	s_and_saveexec_b32 s8, vcc_lo
	s_cbranch_execz .LBB4_787
; %bb.786:                              ;   in Loop: Header=BB4_530 Depth=2
	v_lshrrev_b32_e32 v19, 8, v18
	flat_store_b8 v[70:71], v19 offset:7
.LBB4_787:                              ;   in Loop: Header=BB4_530 Depth=2
	s_or_b32 exec_lo, exec_lo, s8
	s_mov_b32 s8, 0
.LBB4_788:                              ;   in Loop: Header=BB4_530 Depth=2
	s_delay_alu instid0(SALU_CYCLE_1)
	s_and_b32 vcc_lo, exec_lo, s8
	s_cbranch_vccz .LBB4_529
; %bb.789:                              ;   in Loop: Header=BB4_530 Depth=2
	v_perm_b32 v19, v97, v82, 0x6050400
	v_lshlrev_b32_e32 v17, 8, v17
	v_lshlrev_b32_e32 v81, 8, v81
	s_delay_alu instid0(VALU_DEP_3) | instskip(NEXT) | instid1(VALU_DEP_3)
	v_perm_b32 v19, v19, v20, 0x5040c00
	v_perm_b32 v20, v17, v96, 0xc0c0500
	s_delay_alu instid0(VALU_DEP_2) | instskip(NEXT) | instid1(VALU_DEP_2)
	v_and_or_b32 v17, 0xff00, v81, v19
	v_lshl_or_b32 v18, v18, 16, v20
	global_store_b64 v[70:71], v[17:18], off
	s_branch .LBB4_529
.LBB4_790:                              ;   in Loop: Header=BB4_530 Depth=2
	s_mov_b32 s9, -1
	s_mov_b32 s21, exec_lo
                                        ; implicit-def: $sgpr19
	v_cmpx_eq_u16_e32 0x80, v81
; %bb.791:                              ;   in Loop: Header=BB4_530 Depth=2
	s_mov_b32 s19, 0x7f800001
	s_xor_b32 s9, exec_lo, -1
; %bb.792:                              ;   in Loop: Header=BB4_530 Depth=2
	s_or_b32 exec_lo, exec_lo, s21
	s_delay_alu instid0(SALU_CYCLE_1)
	s_and_b32 s9, s9, exec_lo
                                        ; implicit-def: $vgpr81
	s_or_saveexec_b32 s20, s20
	v_mov_b32_e32 v20, s19
	s_xor_b32 exec_lo, exec_lo, s20
	s_cbranch_execz .LBB4_551
.LBB4_793:                              ;   in Loop: Header=BB4_530 Depth=2
	v_cmp_ne_u16_e32 vcc_lo, 0, v81
	v_mov_b32_e32 v20, 0
	s_and_not1_b32 s9, s9, exec_lo
	s_and_b32 s19, vcc_lo, exec_lo
	s_delay_alu instid0(SALU_CYCLE_1)
	s_or_b32 s9, s9, s19
	s_or_b32 exec_lo, exec_lo, s20
	s_and_saveexec_b32 s19, s9
	s_cbranch_execnz .LBB4_552
	s_branch .LBB4_553
.LBB4_794:                              ;   in Loop: Header=BB4_530 Depth=2
	s_mov_b32 s9, -1
	s_mov_b32 s21, exec_lo
                                        ; implicit-def: $sgpr19
	v_cmpx_eq_u16_e32 0x80, v82
; %bb.795:                              ;   in Loop: Header=BB4_530 Depth=2
	s_mov_b32 s19, 0x7f800001
	s_xor_b32 s9, exec_lo, -1
; %bb.796:                              ;   in Loop: Header=BB4_530 Depth=2
	s_or_b32 exec_lo, exec_lo, s21
	s_delay_alu instid0(SALU_CYCLE_1)
	s_and_b32 s9, s9, exec_lo
                                        ; implicit-def: $vgpr82
	s_or_saveexec_b32 s20, s20
	v_mov_b32_e32 v81, s19
	s_xor_b32 exec_lo, exec_lo, s20
	s_cbranch_execz .LBB4_555
.LBB4_797:                              ;   in Loop: Header=BB4_530 Depth=2
	v_cmp_ne_u16_e32 vcc_lo, 0, v82
	v_mov_b32_e32 v81, 0
	s_and_not1_b32 s9, s9, exec_lo
	s_and_b32 s19, vcc_lo, exec_lo
	s_delay_alu instid0(SALU_CYCLE_1)
	s_or_b32 s9, s9, s19
	s_or_b32 exec_lo, exec_lo, s20
	s_and_saveexec_b32 s19, s9
	s_cbranch_execnz .LBB4_556
	s_branch .LBB4_557
.LBB4_798:                              ;   in Loop: Header=BB4_530 Depth=2
	s_mov_b32 s9, -1
	s_mov_b32 s21, exec_lo
                                        ; implicit-def: $sgpr19
	v_cmpx_eq_u16_e32 0x80, v81
; %bb.799:                              ;   in Loop: Header=BB4_530 Depth=2
	s_mov_b32 s19, 0x7f800001
	s_xor_b32 s9, exec_lo, -1
; %bb.800:                              ;   in Loop: Header=BB4_530 Depth=2
	s_or_b32 exec_lo, exec_lo, s21
	s_delay_alu instid0(SALU_CYCLE_1)
	s_and_b32 s9, s9, exec_lo
                                        ; implicit-def: $vgpr81
	s_or_saveexec_b32 s20, s20
	v_mov_b32_e32 v20, s19
	s_xor_b32 exec_lo, exec_lo, s20
	s_cbranch_execz .LBB4_561
.LBB4_801:                              ;   in Loop: Header=BB4_530 Depth=2
	v_cmp_ne_u16_e32 vcc_lo, 0, v81
	v_mov_b32_e32 v20, 0
	s_and_not1_b32 s9, s9, exec_lo
	s_and_b32 s19, vcc_lo, exec_lo
	s_delay_alu instid0(SALU_CYCLE_1)
	s_or_b32 s9, s9, s19
	s_or_b32 exec_lo, exec_lo, s20
	s_and_saveexec_b32 s19, s9
	s_cbranch_execnz .LBB4_562
	s_branch .LBB4_563
.LBB4_802:                              ;   in Loop: Header=BB4_530 Depth=2
	s_mov_b32 s9, -1
	s_mov_b32 s21, exec_lo
                                        ; implicit-def: $sgpr19
	v_cmpx_eq_u16_e32 0x80, v82
; %bb.803:                              ;   in Loop: Header=BB4_530 Depth=2
	s_mov_b32 s19, 0x7f800001
	s_xor_b32 s9, exec_lo, -1
; %bb.804:                              ;   in Loop: Header=BB4_530 Depth=2
	s_or_b32 exec_lo, exec_lo, s21
	s_delay_alu instid0(SALU_CYCLE_1)
	s_and_b32 s9, s9, exec_lo
                                        ; implicit-def: $vgpr82
	s_or_saveexec_b32 s20, s20
	v_mov_b32_e32 v81, s19
	s_xor_b32 exec_lo, exec_lo, s20
	s_cbranch_execz .LBB4_565
.LBB4_805:                              ;   in Loop: Header=BB4_530 Depth=2
	v_cmp_ne_u16_e32 vcc_lo, 0, v82
	v_mov_b32_e32 v81, 0
	s_and_not1_b32 s9, s9, exec_lo
	s_and_b32 s19, vcc_lo, exec_lo
	s_delay_alu instid0(SALU_CYCLE_1)
	s_or_b32 s9, s9, s19
	s_or_b32 exec_lo, exec_lo, s20
	s_and_saveexec_b32 s19, s9
	s_cbranch_execnz .LBB4_566
	s_branch .LBB4_567
.LBB4_806:                              ;   in Loop: Header=BB4_530 Depth=2
	s_mov_b32 s9, -1
	s_mov_b32 s21, exec_lo
                                        ; implicit-def: $sgpr19
	v_cmpx_eq_u16_e32 0x80, v82
; %bb.807:                              ;   in Loop: Header=BB4_530 Depth=2
	s_mov_b32 s19, 0x7f800001
	s_xor_b32 s9, exec_lo, -1
; %bb.808:                              ;   in Loop: Header=BB4_530 Depth=2
	s_or_b32 exec_lo, exec_lo, s21
	s_delay_alu instid0(SALU_CYCLE_1)
	s_and_b32 s9, s9, exec_lo
	s_or_saveexec_b32 s20, s20
	v_mov_b32_e32 v132, s19
	s_xor_b32 exec_lo, exec_lo, s20
	s_cbranch_execz .LBB4_579
.LBB4_809:                              ;   in Loop: Header=BB4_530 Depth=2
	v_cmp_ne_u16_e32 vcc_lo, 0, v82
	v_mov_b32_e32 v132, 0
	s_and_not1_b32 s9, s9, exec_lo
	s_and_b32 s19, vcc_lo, exec_lo
	s_delay_alu instid0(SALU_CYCLE_1)
	s_or_b32 s9, s9, s19
	s_or_b32 exec_lo, exec_lo, s20
	s_and_saveexec_b32 s19, s9
	s_cbranch_execnz .LBB4_580
	s_branch .LBB4_581
.LBB4_810:                              ;   in Loop: Header=BB4_530 Depth=2
	s_mov_b32 s9, -1
	s_mov_b32 s21, exec_lo
                                        ; implicit-def: $sgpr19
	v_cmpx_eq_u16_e32 0x80, v81
; %bb.811:                              ;   in Loop: Header=BB4_530 Depth=2
	s_mov_b32 s19, 0x7f800001
	s_xor_b32 s9, exec_lo, -1
; %bb.812:                              ;   in Loop: Header=BB4_530 Depth=2
	s_or_b32 exec_lo, exec_lo, s21
	s_delay_alu instid0(SALU_CYCLE_1)
	s_and_b32 s9, s9, exec_lo
	s_or_saveexec_b32 s20, s20
	v_mov_b32_e32 v82, s19
	s_xor_b32 exec_lo, exec_lo, s20
	s_cbranch_execz .LBB4_583
.LBB4_813:                              ;   in Loop: Header=BB4_530 Depth=2
	v_cmp_ne_u16_e32 vcc_lo, 0, v81
	v_mov_b32_e32 v82, 0
	s_and_not1_b32 s9, s9, exec_lo
	s_and_b32 s19, vcc_lo, exec_lo
	s_delay_alu instid0(SALU_CYCLE_1)
	s_or_b32 s9, s9, s19
	s_or_b32 exec_lo, exec_lo, s20
	s_and_saveexec_b32 s19, s9
	s_cbranch_execnz .LBB4_584
	s_branch .LBB4_585
.LBB4_814:                              ;   in Loop: Header=BB4_530 Depth=2
	s_mov_b32 s9, -1
	s_mov_b32 s21, exec_lo
                                        ; implicit-def: $sgpr19
	v_cmpx_eq_u16_e32 0x80, v82
; %bb.815:                              ;   in Loop: Header=BB4_530 Depth=2
	s_mov_b32 s19, 0x7f800001
	s_xor_b32 s9, exec_lo, -1
; %bb.816:                              ;   in Loop: Header=BB4_530 Depth=2
	s_or_b32 exec_lo, exec_lo, s21
	s_delay_alu instid0(SALU_CYCLE_1)
	s_and_b32 s9, s9, exec_lo
	s_or_saveexec_b32 s20, s20
	v_mov_b32_e32 v132, s19
	s_xor_b32 exec_lo, exec_lo, s20
	s_cbranch_execz .LBB4_589
.LBB4_817:                              ;   in Loop: Header=BB4_530 Depth=2
	v_cmp_ne_u16_e32 vcc_lo, 0, v82
	v_mov_b32_e32 v132, 0
	s_and_not1_b32 s9, s9, exec_lo
	s_and_b32 s19, vcc_lo, exec_lo
	s_delay_alu instid0(SALU_CYCLE_1)
	s_or_b32 s9, s9, s19
	s_or_b32 exec_lo, exec_lo, s20
	s_and_saveexec_b32 s19, s9
	s_cbranch_execnz .LBB4_590
	s_branch .LBB4_591
.LBB4_818:                              ;   in Loop: Header=BB4_530 Depth=2
	s_mov_b32 s9, -1
	s_mov_b32 s21, exec_lo
                                        ; implicit-def: $sgpr19
	v_cmpx_eq_u16_e32 0x80, v81
; %bb.819:                              ;   in Loop: Header=BB4_530 Depth=2
	s_mov_b32 s19, 0x7f800001
	s_xor_b32 s9, exec_lo, -1
; %bb.820:                              ;   in Loop: Header=BB4_530 Depth=2
	s_or_b32 exec_lo, exec_lo, s21
	s_delay_alu instid0(SALU_CYCLE_1)
	s_and_b32 s9, s9, exec_lo
	s_or_saveexec_b32 s20, s20
	v_mov_b32_e32 v82, s19
	s_xor_b32 exec_lo, exec_lo, s20
	s_cbranch_execz .LBB4_593
.LBB4_821:                              ;   in Loop: Header=BB4_530 Depth=2
	v_cmp_ne_u16_e32 vcc_lo, 0, v81
	v_mov_b32_e32 v82, 0
	s_and_not1_b32 s9, s9, exec_lo
	s_and_b32 s19, vcc_lo, exec_lo
	s_delay_alu instid0(SALU_CYCLE_1)
	s_or_b32 s9, s9, s19
	s_or_b32 exec_lo, exec_lo, s20
	s_and_saveexec_b32 s19, s9
	s_cbranch_execnz .LBB4_594
	s_branch .LBB4_595
.LBB4_822:                              ;   in Loop: Header=BB4_530 Depth=2
	s_mov_b32 s9, -1
	s_mov_b32 s21, exec_lo
                                        ; implicit-def: $sgpr19
	v_cmpx_eq_u16_e64 0x80, v134
; %bb.823:                              ;   in Loop: Header=BB4_530 Depth=2
	s_mov_b32 s19, 0x7f800001
	s_xor_b32 s9, exec_lo, -1
; %bb.824:                              ;   in Loop: Header=BB4_530 Depth=2
	s_or_b32 exec_lo, exec_lo, s21
	s_delay_alu instid0(SALU_CYCLE_1)
	s_and_b32 s9, s9, exec_lo
                                        ; implicit-def: $vgpr134
	s_or_saveexec_b32 s20, s20
	v_mov_b32_e32 v133, s19
	s_xor_b32 exec_lo, exec_lo, s20
	s_cbranch_execz .LBB4_607
.LBB4_825:                              ;   in Loop: Header=BB4_530 Depth=2
	v_cmp_ne_u16_e64 vcc_lo, 0, v134
	v_mov_b32_e32 v133, 0
	s_and_not1_b32 s9, s9, exec_lo
	s_delay_alu instid0(VALU_DEP_2) | instskip(NEXT) | instid1(SALU_CYCLE_1)
	s_and_b32 s19, vcc_lo, exec_lo
	s_or_b32 s9, s9, s19
	s_or_b32 exec_lo, exec_lo, s20
	s_and_saveexec_b32 s19, s9
	s_cbranch_execnz .LBB4_608
	s_branch .LBB4_609
.LBB4_826:                              ;   in Loop: Header=BB4_530 Depth=2
	s_mov_b32 s9, -1
	s_mov_b32 s21, exec_lo
                                        ; implicit-def: $sgpr19
	v_cmpx_eq_u16_e64 0x80, v134
; %bb.827:                              ;   in Loop: Header=BB4_530 Depth=2
	s_mov_b32 s19, 0x7f800001
	s_xor_b32 s9, exec_lo, -1
; %bb.828:                              ;   in Loop: Header=BB4_530 Depth=2
	s_or_b32 exec_lo, exec_lo, s21
	s_delay_alu instid0(SALU_CYCLE_1)
	s_and_b32 s9, s9, exec_lo
                                        ; implicit-def: $vgpr134
	s_or_saveexec_b32 s20, s20
	v_mov_b32_e32 v132, s19
	s_xor_b32 exec_lo, exec_lo, s20
	s_cbranch_execz .LBB4_611
.LBB4_829:                              ;   in Loop: Header=BB4_530 Depth=2
	v_cmp_ne_u16_e64 vcc_lo, 0, v134
	v_mov_b32_e32 v132, 0
	s_and_not1_b32 s9, s9, exec_lo
	s_delay_alu instid0(VALU_DEP_2) | instskip(NEXT) | instid1(SALU_CYCLE_1)
	s_and_b32 s19, vcc_lo, exec_lo
	s_or_b32 s9, s9, s19
	s_or_b32 exec_lo, exec_lo, s20
	s_and_saveexec_b32 s19, s9
	s_cbranch_execnz .LBB4_612
	s_branch .LBB4_613
.LBB4_830:                              ;   in Loop: Header=BB4_530 Depth=2
	s_mov_b32 s9, -1
	s_mov_b32 s21, exec_lo
                                        ; implicit-def: $sgpr19
	v_cmpx_eq_u16_e64 0x80, v134
; %bb.831:                              ;   in Loop: Header=BB4_530 Depth=2
	s_mov_b32 s19, 0x7f800001
	s_xor_b32 s9, exec_lo, -1
; %bb.832:                              ;   in Loop: Header=BB4_530 Depth=2
	s_or_b32 exec_lo, exec_lo, s21
	s_delay_alu instid0(SALU_CYCLE_1)
	s_and_b32 s9, s9, exec_lo
                                        ; implicit-def: $vgpr134
	s_or_saveexec_b32 s20, s20
	v_mov_b32_e32 v133, s19
	s_xor_b32 exec_lo, exec_lo, s20
	s_cbranch_execz .LBB4_617
.LBB4_833:                              ;   in Loop: Header=BB4_530 Depth=2
	v_cmp_ne_u16_e64 vcc_lo, 0, v134
	v_mov_b32_e32 v133, 0
	s_and_not1_b32 s9, s9, exec_lo
	s_delay_alu instid0(VALU_DEP_2) | instskip(NEXT) | instid1(SALU_CYCLE_1)
	s_and_b32 s19, vcc_lo, exec_lo
	s_or_b32 s9, s9, s19
	s_or_b32 exec_lo, exec_lo, s20
	s_and_saveexec_b32 s19, s9
	s_cbranch_execnz .LBB4_618
	s_branch .LBB4_619
.LBB4_834:                              ;   in Loop: Header=BB4_530 Depth=2
	s_mov_b32 s9, -1
	s_mov_b32 s21, exec_lo
                                        ; implicit-def: $sgpr19
	v_cmpx_eq_u16_e64 0x80, v134
; %bb.835:                              ;   in Loop: Header=BB4_530 Depth=2
	s_mov_b32 s19, 0x7f800001
	s_xor_b32 s9, exec_lo, -1
; %bb.836:                              ;   in Loop: Header=BB4_530 Depth=2
	s_or_b32 exec_lo, exec_lo, s21
	s_delay_alu instid0(SALU_CYCLE_1)
	s_and_b32 s9, s9, exec_lo
                                        ; implicit-def: $vgpr134
	s_or_saveexec_b32 s20, s20
	v_mov_b32_e32 v132, s19
	s_xor_b32 exec_lo, exec_lo, s20
	s_cbranch_execz .LBB4_621
.LBB4_837:                              ;   in Loop: Header=BB4_530 Depth=2
	v_cmp_ne_u16_e64 vcc_lo, 0, v134
	v_mov_b32_e32 v132, 0
	s_and_not1_b32 s9, s9, exec_lo
	s_delay_alu instid0(VALU_DEP_2) | instskip(NEXT) | instid1(SALU_CYCLE_1)
	s_and_b32 s19, vcc_lo, exec_lo
	s_or_b32 s9, s9, s19
	s_or_b32 exec_lo, exec_lo, s20
	s_and_saveexec_b32 s19, s9
	s_cbranch_execnz .LBB4_622
	s_branch .LBB4_623
.LBB4_838:                              ;   in Loop: Header=BB4_530 Depth=2
	s_mov_b32 s9, -1
	s_mov_b32 s21, exec_lo
                                        ; implicit-def: $sgpr19
	v_cmpx_eq_u16_e64 0x80, v133
; %bb.839:                              ;   in Loop: Header=BB4_530 Depth=2
	s_mov_b32 s19, 0x7f800001
	s_xor_b32 s9, exec_lo, -1
; %bb.840:                              ;   in Loop: Header=BB4_530 Depth=2
	s_or_b32 exec_lo, exec_lo, s21
	s_delay_alu instid0(SALU_CYCLE_1)
	s_and_b32 s9, s9, exec_lo
	s_or_saveexec_b32 s20, s20
	v_mov_b32_e32 v134, s19
	s_xor_b32 exec_lo, exec_lo, s20
	s_cbranch_execz .LBB4_635
.LBB4_841:                              ;   in Loop: Header=BB4_530 Depth=2
	v_cmp_ne_u16_e64 vcc_lo, 0, v133
	v_mov_b32_e32 v134, 0
	s_and_not1_b32 s9, s9, exec_lo
	s_delay_alu instid0(VALU_DEP_2) | instskip(NEXT) | instid1(SALU_CYCLE_1)
	s_and_b32 s19, vcc_lo, exec_lo
	s_or_b32 s9, s9, s19
	s_or_b32 exec_lo, exec_lo, s20
	s_and_saveexec_b32 s19, s9
	s_cbranch_execnz .LBB4_636
	s_branch .LBB4_637
.LBB4_842:                              ;   in Loop: Header=BB4_530 Depth=2
	s_mov_b32 s9, -1
	s_mov_b32 s21, exec_lo
                                        ; implicit-def: $sgpr19
	v_cmpx_eq_u16_e64 0x80, v132
; %bb.843:                              ;   in Loop: Header=BB4_530 Depth=2
	s_mov_b32 s19, 0x7f800001
	s_xor_b32 s9, exec_lo, -1
; %bb.844:                              ;   in Loop: Header=BB4_530 Depth=2
	s_or_b32 exec_lo, exec_lo, s21
	s_delay_alu instid0(SALU_CYCLE_1)
	s_and_b32 s9, s9, exec_lo
	s_or_saveexec_b32 s20, s20
	v_mov_b32_e32 v17, s19
	s_xor_b32 exec_lo, exec_lo, s20
	s_cbranch_execz .LBB4_639
.LBB4_845:                              ;   in Loop: Header=BB4_530 Depth=2
	v_cmp_ne_u16_e64 vcc_lo, 0, v132
	v_mov_b32_e32 v17, 0
	s_and_not1_b32 s9, s9, exec_lo
	s_delay_alu instid0(VALU_DEP_2) | instskip(NEXT) | instid1(SALU_CYCLE_1)
	s_and_b32 s19, vcc_lo, exec_lo
	s_or_b32 s9, s9, s19
	s_or_b32 exec_lo, exec_lo, s20
	s_and_saveexec_b32 s19, s9
	s_cbranch_execnz .LBB4_640
	s_branch .LBB4_641
.LBB4_846:                              ;   in Loop: Header=BB4_530 Depth=2
	s_mov_b32 s9, -1
	s_mov_b32 s21, exec_lo
                                        ; implicit-def: $sgpr19
	v_cmpx_eq_u16_e64 0x80, v133
; %bb.847:                              ;   in Loop: Header=BB4_530 Depth=2
	s_mov_b32 s19, 0x7f800001
	s_xor_b32 s9, exec_lo, -1
; %bb.848:                              ;   in Loop: Header=BB4_530 Depth=2
	s_or_b32 exec_lo, exec_lo, s21
	s_delay_alu instid0(SALU_CYCLE_1)
	s_and_b32 s9, s9, exec_lo
	s_or_saveexec_b32 s20, s20
	v_mov_b32_e32 v134, s19
	s_xor_b32 exec_lo, exec_lo, s20
	s_cbranch_execz .LBB4_645
.LBB4_849:                              ;   in Loop: Header=BB4_530 Depth=2
	v_cmp_ne_u16_e64 vcc_lo, 0, v133
	v_mov_b32_e32 v134, 0
	s_and_not1_b32 s9, s9, exec_lo
	s_delay_alu instid0(VALU_DEP_2) | instskip(NEXT) | instid1(SALU_CYCLE_1)
	s_and_b32 s19, vcc_lo, exec_lo
	s_or_b32 s9, s9, s19
	s_or_b32 exec_lo, exec_lo, s20
	s_and_saveexec_b32 s19, s9
	s_cbranch_execnz .LBB4_646
	s_branch .LBB4_647
.LBB4_850:                              ;   in Loop: Header=BB4_530 Depth=2
	s_mov_b32 s9, -1
	s_mov_b32 s21, exec_lo
                                        ; implicit-def: $sgpr19
	v_cmpx_eq_u16_e64 0x80, v132
; %bb.851:                              ;   in Loop: Header=BB4_530 Depth=2
	s_mov_b32 s19, 0x7f800001
	s_xor_b32 s9, exec_lo, -1
; %bb.852:                              ;   in Loop: Header=BB4_530 Depth=2
	s_or_b32 exec_lo, exec_lo, s21
	s_delay_alu instid0(SALU_CYCLE_1)
	s_and_b32 s9, s9, exec_lo
	s_or_saveexec_b32 s20, s20
	v_mov_b32_e32 v17, s19
	s_xor_b32 exec_lo, exec_lo, s20
	s_cbranch_execz .LBB4_649
.LBB4_853:                              ;   in Loop: Header=BB4_530 Depth=2
	v_cmp_ne_u16_e64 vcc_lo, 0, v132
	v_mov_b32_e32 v17, 0
	s_and_not1_b32 s9, s9, exec_lo
	s_delay_alu instid0(VALU_DEP_2) | instskip(NEXT) | instid1(SALU_CYCLE_1)
	s_and_b32 s19, vcc_lo, exec_lo
	s_or_b32 s9, s9, s19
	s_or_b32 exec_lo, exec_lo, s20
	s_and_saveexec_b32 s19, s9
	s_cbranch_execnz .LBB4_650
	s_branch .LBB4_651
.LBB4_854:                              ;   in Loop: Header=BB4_530 Depth=2
	s_mov_b32 s9, -1
	s_mov_b32 s21, exec_lo
                                        ; implicit-def: $sgpr19
	v_cmpx_eq_u16_e32 0x80, v18
; %bb.855:                              ;   in Loop: Header=BB4_530 Depth=2
	s_mov_b32 s19, 0x7f800001
	s_xor_b32 s9, exec_lo, -1
; %bb.856:                              ;   in Loop: Header=BB4_530 Depth=2
	s_or_b32 exec_lo, exec_lo, s21
	s_delay_alu instid0(SALU_CYCLE_1)
	s_and_b32 s9, s9, exec_lo
                                        ; implicit-def: $vgpr18
	s_or_saveexec_b32 s20, s20
	v_mov_b32_e32 v17, s19
	s_xor_b32 exec_lo, exec_lo, s20
	s_cbranch_execz .LBB4_663
.LBB4_857:                              ;   in Loop: Header=BB4_530 Depth=2
	v_cmp_ne_u16_e32 vcc_lo, 0, v18
	v_mov_b32_e32 v17, 0
	s_and_not1_b32 s9, s9, exec_lo
	s_and_b32 s19, vcc_lo, exec_lo
	s_delay_alu instid0(SALU_CYCLE_1)
	s_or_b32 s9, s9, s19
	s_or_b32 exec_lo, exec_lo, s20
	s_and_saveexec_b32 s19, s9
	s_cbranch_execnz .LBB4_664
	s_branch .LBB4_665
.LBB4_858:                              ;   in Loop: Header=BB4_530 Depth=2
	s_mov_b32 s9, -1
	s_mov_b32 s21, exec_lo
                                        ; implicit-def: $sgpr19
	v_cmpx_eq_u16_e32 0x80, v96
; %bb.859:                              ;   in Loop: Header=BB4_530 Depth=2
	s_mov_b32 s19, 0x7f800001
	s_xor_b32 s9, exec_lo, -1
; %bb.860:                              ;   in Loop: Header=BB4_530 Depth=2
	s_or_b32 exec_lo, exec_lo, s21
	s_delay_alu instid0(SALU_CYCLE_1)
	s_and_b32 s9, s9, exec_lo
                                        ; implicit-def: $vgpr96
	s_or_saveexec_b32 s20, s20
	v_mov_b32_e32 v18, s19
	s_xor_b32 exec_lo, exec_lo, s20
	s_cbranch_execz .LBB4_667
.LBB4_861:                              ;   in Loop: Header=BB4_530 Depth=2
	v_cmp_ne_u16_e32 vcc_lo, 0, v96
	v_mov_b32_e32 v18, 0
	s_and_not1_b32 s9, s9, exec_lo
	s_and_b32 s19, vcc_lo, exec_lo
	s_delay_alu instid0(SALU_CYCLE_1)
	s_or_b32 s9, s9, s19
	s_or_b32 exec_lo, exec_lo, s20
	s_and_saveexec_b32 s19, s9
	s_cbranch_execnz .LBB4_668
	s_branch .LBB4_669
.LBB4_862:                              ;   in Loop: Header=BB4_530 Depth=2
	s_mov_b32 s9, -1
	s_mov_b32 s21, exec_lo
                                        ; implicit-def: $sgpr19
	v_cmpx_eq_u16_e32 0x80, v18
; %bb.863:                              ;   in Loop: Header=BB4_530 Depth=2
	s_mov_b32 s19, 0x7f800001
	s_xor_b32 s9, exec_lo, -1
; %bb.864:                              ;   in Loop: Header=BB4_530 Depth=2
	s_or_b32 exec_lo, exec_lo, s21
	s_delay_alu instid0(SALU_CYCLE_1)
	s_and_b32 s9, s9, exec_lo
                                        ; implicit-def: $vgpr18
	s_or_saveexec_b32 s20, s20
	v_mov_b32_e32 v17, s19
	s_xor_b32 exec_lo, exec_lo, s20
	s_cbranch_execz .LBB4_673
.LBB4_865:                              ;   in Loop: Header=BB4_530 Depth=2
	v_cmp_ne_u16_e32 vcc_lo, 0, v18
	v_mov_b32_e32 v17, 0
	s_and_not1_b32 s9, s9, exec_lo
	s_and_b32 s19, vcc_lo, exec_lo
	s_delay_alu instid0(SALU_CYCLE_1)
	s_or_b32 s9, s9, s19
	s_or_b32 exec_lo, exec_lo, s20
	s_and_saveexec_b32 s19, s9
	s_cbranch_execnz .LBB4_674
	s_branch .LBB4_675
.LBB4_866:                              ;   in Loop: Header=BB4_530 Depth=2
	s_mov_b32 s9, -1
	s_mov_b32 s21, exec_lo
                                        ; implicit-def: $sgpr19
	v_cmpx_eq_u16_e32 0x80, v96
; %bb.867:                              ;   in Loop: Header=BB4_530 Depth=2
	s_mov_b32 s19, 0x7f800001
	s_xor_b32 s9, exec_lo, -1
; %bb.868:                              ;   in Loop: Header=BB4_530 Depth=2
	s_or_b32 exec_lo, exec_lo, s21
	s_delay_alu instid0(SALU_CYCLE_1)
	s_and_b32 s9, s9, exec_lo
                                        ; implicit-def: $vgpr96
	s_or_saveexec_b32 s20, s20
	v_mov_b32_e32 v18, s19
	s_xor_b32 exec_lo, exec_lo, s20
	s_cbranch_execz .LBB4_677
.LBB4_869:                              ;   in Loop: Header=BB4_530 Depth=2
	v_cmp_ne_u16_e32 vcc_lo, 0, v96
	v_mov_b32_e32 v18, 0
	s_and_not1_b32 s9, s9, exec_lo
	s_and_b32 s19, vcc_lo, exec_lo
	s_delay_alu instid0(SALU_CYCLE_1)
	s_or_b32 s9, s9, s19
	s_or_b32 exec_lo, exec_lo, s20
	s_and_saveexec_b32 s19, s9
	s_cbranch_execnz .LBB4_678
	s_branch .LBB4_679
.LBB4_870:                              ;   in Loop: Header=BB4_530 Depth=2
	s_mov_b32 s9, -1
	s_mov_b32 s21, exec_lo
                                        ; implicit-def: $sgpr19
	v_cmpx_eq_u16_e64 0x80, v133
; %bb.871:                              ;   in Loop: Header=BB4_530 Depth=2
	s_mov_b32 s19, 0x7f800001
	s_xor_b32 s9, exec_lo, -1
; %bb.872:                              ;   in Loop: Header=BB4_530 Depth=2
	s_or_b32 exec_lo, exec_lo, s21
	s_delay_alu instid0(SALU_CYCLE_1)
	s_and_b32 s9, s9, exec_lo
	s_or_saveexec_b32 s20, s20
	v_mov_b32_e32 v18, s19
	s_xor_b32 exec_lo, exec_lo, s20
	s_cbranch_execz .LBB4_691
.LBB4_873:                              ;   in Loop: Header=BB4_530 Depth=2
	v_cmp_ne_u16_e64 vcc_lo, 0, v133
	v_mov_b32_e32 v18, 0
	s_and_not1_b32 s9, s9, exec_lo
	s_delay_alu instid0(VALU_DEP_2) | instskip(NEXT) | instid1(SALU_CYCLE_1)
	s_and_b32 s19, vcc_lo, exec_lo
	s_or_b32 s9, s9, s19
	s_or_b32 exec_lo, exec_lo, s20
	s_and_saveexec_b32 s19, s9
	s_cbranch_execnz .LBB4_692
	s_branch .LBB4_693
.LBB4_874:                              ;   in Loop: Header=BB4_530 Depth=2
	s_mov_b32 s9, -1
	s_mov_b32 s21, exec_lo
                                        ; implicit-def: $sgpr19
	v_cmpx_eq_u16_e64 0x80, v132
; %bb.875:                              ;   in Loop: Header=BB4_530 Depth=2
	s_mov_b32 s19, 0x7f800001
	s_xor_b32 s9, exec_lo, -1
; %bb.876:                              ;   in Loop: Header=BB4_530 Depth=2
	s_or_b32 exec_lo, exec_lo, s21
	s_delay_alu instid0(SALU_CYCLE_1)
	s_and_b32 s9, s9, exec_lo
	s_or_saveexec_b32 s20, s20
	v_mov_b32_e32 v17, s19
	s_xor_b32 exec_lo, exec_lo, s20
	s_cbranch_execz .LBB4_695
.LBB4_877:                              ;   in Loop: Header=BB4_530 Depth=2
	v_cmp_ne_u16_e64 vcc_lo, 0, v132
	v_mov_b32_e32 v17, 0
	s_and_not1_b32 s9, s9, exec_lo
	s_delay_alu instid0(VALU_DEP_2) | instskip(NEXT) | instid1(SALU_CYCLE_1)
	s_and_b32 s19, vcc_lo, exec_lo
	s_or_b32 s9, s9, s19
	s_or_b32 exec_lo, exec_lo, s20
	s_and_saveexec_b32 s19, s9
	s_cbranch_execnz .LBB4_696
	s_branch .LBB4_697
.LBB4_878:                              ;   in Loop: Header=BB4_530 Depth=2
	s_mov_b32 s9, -1
	s_mov_b32 s21, exec_lo
                                        ; implicit-def: $sgpr19
	v_cmpx_eq_u16_e64 0x80, v133
; %bb.879:                              ;   in Loop: Header=BB4_530 Depth=2
	s_mov_b32 s19, 0x7f800001
	s_xor_b32 s9, exec_lo, -1
; %bb.880:                              ;   in Loop: Header=BB4_530 Depth=2
	s_or_b32 exec_lo, exec_lo, s21
	s_delay_alu instid0(SALU_CYCLE_1)
	s_and_b32 s9, s9, exec_lo
	s_or_saveexec_b32 s20, s20
	v_mov_b32_e32 v18, s19
	s_xor_b32 exec_lo, exec_lo, s20
	s_cbranch_execz .LBB4_701
.LBB4_881:                              ;   in Loop: Header=BB4_530 Depth=2
	v_cmp_ne_u16_e64 vcc_lo, 0, v133
	v_mov_b32_e32 v18, 0
	s_and_not1_b32 s9, s9, exec_lo
	s_delay_alu instid0(VALU_DEP_2) | instskip(NEXT) | instid1(SALU_CYCLE_1)
	s_and_b32 s19, vcc_lo, exec_lo
	s_or_b32 s9, s9, s19
	s_or_b32 exec_lo, exec_lo, s20
	s_and_saveexec_b32 s19, s9
	s_cbranch_execnz .LBB4_702
	s_branch .LBB4_703
.LBB4_882:                              ;   in Loop: Header=BB4_530 Depth=2
	s_mov_b32 s9, -1
	s_mov_b32 s21, exec_lo
                                        ; implicit-def: $sgpr19
	v_cmpx_eq_u16_e64 0x80, v132
; %bb.883:                              ;   in Loop: Header=BB4_530 Depth=2
	s_mov_b32 s19, 0x7f800001
	s_xor_b32 s9, exec_lo, -1
; %bb.884:                              ;   in Loop: Header=BB4_530 Depth=2
	s_or_b32 exec_lo, exec_lo, s21
	s_delay_alu instid0(SALU_CYCLE_1)
	s_and_b32 s9, s9, exec_lo
	s_or_saveexec_b32 s20, s20
	v_mov_b32_e32 v17, s19
	s_xor_b32 exec_lo, exec_lo, s20
	s_cbranch_execz .LBB4_705
.LBB4_885:                              ;   in Loop: Header=BB4_530 Depth=2
	v_cmp_ne_u16_e64 vcc_lo, 0, v132
	v_mov_b32_e32 v17, 0
	s_and_not1_b32 s9, s9, exec_lo
	s_delay_alu instid0(VALU_DEP_2) | instskip(NEXT) | instid1(SALU_CYCLE_1)
	s_and_b32 s19, vcc_lo, exec_lo
	s_or_b32 s9, s9, s19
	s_or_b32 exec_lo, exec_lo, s20
	s_and_saveexec_b32 s19, s9
	s_cbranch_execnz .LBB4_706
	s_branch .LBB4_707
.LBB4_886:                              ;   in Loop: Header=BB4_530 Depth=2
	s_mov_b32 s9, -1
	s_mov_b32 s21, exec_lo
                                        ; implicit-def: $sgpr19
	v_cmpx_eq_u16_e64 0x80, v134
; %bb.887:                              ;   in Loop: Header=BB4_530 Depth=2
	s_mov_b32 s19, 0x7f800001
	s_xor_b32 s9, exec_lo, -1
; %bb.888:                              ;   in Loop: Header=BB4_530 Depth=2
	s_or_b32 exec_lo, exec_lo, s21
	s_delay_alu instid0(SALU_CYCLE_1)
	s_and_b32 s9, s9, exec_lo
                                        ; implicit-def: $vgpr134
	s_or_saveexec_b32 s20, s20
	v_mov_b32_e32 v133, s19
	s_xor_b32 exec_lo, exec_lo, s20
	s_cbranch_execz .LBB4_719
.LBB4_889:                              ;   in Loop: Header=BB4_530 Depth=2
	v_cmp_ne_u16_e64 vcc_lo, 0, v134
	v_mov_b32_e32 v133, 0
	s_and_not1_b32 s9, s9, exec_lo
	s_delay_alu instid0(VALU_DEP_2) | instskip(NEXT) | instid1(SALU_CYCLE_1)
	s_and_b32 s19, vcc_lo, exec_lo
	s_or_b32 s9, s9, s19
	s_or_b32 exec_lo, exec_lo, s20
	s_and_saveexec_b32 s19, s9
	s_cbranch_execnz .LBB4_720
	s_branch .LBB4_721
.LBB4_890:                              ;   in Loop: Header=BB4_530 Depth=2
	s_mov_b32 s9, -1
	s_mov_b32 s21, exec_lo
                                        ; implicit-def: $sgpr19
	v_cmpx_eq_u16_e64 0x80, v134
; %bb.891:                              ;   in Loop: Header=BB4_530 Depth=2
	s_mov_b32 s19, 0x7f800001
	s_xor_b32 s9, exec_lo, -1
; %bb.892:                              ;   in Loop: Header=BB4_530 Depth=2
	s_or_b32 exec_lo, exec_lo, s21
	s_delay_alu instid0(SALU_CYCLE_1)
	s_and_b32 s9, s9, exec_lo
                                        ; implicit-def: $vgpr134
	s_or_saveexec_b32 s20, s20
	v_mov_b32_e32 v132, s19
	s_xor_b32 exec_lo, exec_lo, s20
	s_cbranch_execz .LBB4_723
.LBB4_893:                              ;   in Loop: Header=BB4_530 Depth=2
	v_cmp_ne_u16_e64 vcc_lo, 0, v134
	v_mov_b32_e32 v132, 0
	s_and_not1_b32 s9, s9, exec_lo
	s_delay_alu instid0(VALU_DEP_2) | instskip(NEXT) | instid1(SALU_CYCLE_1)
	s_and_b32 s19, vcc_lo, exec_lo
	s_or_b32 s9, s9, s19
	s_or_b32 exec_lo, exec_lo, s20
	s_and_saveexec_b32 s19, s9
	s_cbranch_execnz .LBB4_724
	s_branch .LBB4_725
.LBB4_894:                              ;   in Loop: Header=BB4_530 Depth=2
	s_mov_b32 s9, -1
	s_mov_b32 s21, exec_lo
                                        ; implicit-def: $sgpr19
	v_cmpx_eq_u16_e64 0x80, v134
; %bb.895:                              ;   in Loop: Header=BB4_530 Depth=2
	s_mov_b32 s19, 0x7f800001
	s_xor_b32 s9, exec_lo, -1
; %bb.896:                              ;   in Loop: Header=BB4_530 Depth=2
	s_or_b32 exec_lo, exec_lo, s21
	s_delay_alu instid0(SALU_CYCLE_1)
	s_and_b32 s9, s9, exec_lo
                                        ; implicit-def: $vgpr134
	s_or_saveexec_b32 s20, s20
	v_mov_b32_e32 v133, s19
	s_xor_b32 exec_lo, exec_lo, s20
	s_cbranch_execz .LBB4_729
.LBB4_897:                              ;   in Loop: Header=BB4_530 Depth=2
	v_cmp_ne_u16_e64 vcc_lo, 0, v134
	v_mov_b32_e32 v133, 0
	s_and_not1_b32 s9, s9, exec_lo
	s_delay_alu instid0(VALU_DEP_2) | instskip(NEXT) | instid1(SALU_CYCLE_1)
	s_and_b32 s19, vcc_lo, exec_lo
	s_or_b32 s9, s9, s19
	s_or_b32 exec_lo, exec_lo, s20
	s_and_saveexec_b32 s19, s9
	s_cbranch_execnz .LBB4_730
	s_branch .LBB4_731
.LBB4_898:                              ;   in Loop: Header=BB4_530 Depth=2
	s_mov_b32 s9, -1
	s_mov_b32 s21, exec_lo
                                        ; implicit-def: $sgpr19
	v_cmpx_eq_u16_e64 0x80, v134
; %bb.899:                              ;   in Loop: Header=BB4_530 Depth=2
	s_mov_b32 s19, 0x7f800001
	s_xor_b32 s9, exec_lo, -1
; %bb.900:                              ;   in Loop: Header=BB4_530 Depth=2
	s_or_b32 exec_lo, exec_lo, s21
	s_delay_alu instid0(SALU_CYCLE_1)
	s_and_b32 s9, s9, exec_lo
                                        ; implicit-def: $vgpr134
	s_or_saveexec_b32 s20, s20
	v_mov_b32_e32 v132, s19
	s_xor_b32 exec_lo, exec_lo, s20
	s_cbranch_execz .LBB4_733
.LBB4_901:                              ;   in Loop: Header=BB4_530 Depth=2
	v_cmp_ne_u16_e64 vcc_lo, 0, v134
	v_mov_b32_e32 v132, 0
	s_and_not1_b32 s9, s9, exec_lo
	s_delay_alu instid0(VALU_DEP_2) | instskip(NEXT) | instid1(SALU_CYCLE_1)
	s_and_b32 s19, vcc_lo, exec_lo
	s_or_b32 s9, s9, s19
	s_or_b32 exec_lo, exec_lo, s20
	s_and_saveexec_b32 s19, s9
	s_cbranch_execnz .LBB4_734
	s_branch .LBB4_735
.LBB4_902:                              ;   in Loop: Header=BB4_530 Depth=2
	s_mov_b32 s9, -1
	s_mov_b32 s21, exec_lo
                                        ; implicit-def: $sgpr19
	v_cmpx_eq_u16_e32 0x80, v18
; %bb.903:                              ;   in Loop: Header=BB4_530 Depth=2
	s_mov_b32 s19, 0x7f800001
	s_xor_b32 s9, exec_lo, -1
; %bb.904:                              ;   in Loop: Header=BB4_530 Depth=2
	s_or_b32 exec_lo, exec_lo, s21
	s_delay_alu instid0(SALU_CYCLE_1)
	s_and_b32 s9, s9, exec_lo
	s_or_saveexec_b32 s20, s20
	v_mov_b32_e32 v134, s19
	s_xor_b32 exec_lo, exec_lo, s20
	s_cbranch_execz .LBB4_747
.LBB4_905:                              ;   in Loop: Header=BB4_530 Depth=2
	v_cmp_ne_u16_e32 vcc_lo, 0, v18
	v_mov_b32_e32 v134, 0
	s_and_not1_b32 s9, s9, exec_lo
	s_and_b32 s19, vcc_lo, exec_lo
	s_delay_alu instid0(SALU_CYCLE_1)
	s_or_b32 s9, s9, s19
	s_or_b32 exec_lo, exec_lo, s20
	s_and_saveexec_b32 s19, s9
	s_cbranch_execnz .LBB4_748
	s_branch .LBB4_749
.LBB4_906:                              ;   in Loop: Header=BB4_530 Depth=2
	s_mov_b32 s9, -1
	s_mov_b32 s21, exec_lo
                                        ; implicit-def: $sgpr19
	v_cmpx_eq_u16_e64 0x80, v133
; %bb.907:                              ;   in Loop: Header=BB4_530 Depth=2
	s_mov_b32 s19, 0x7f800001
	s_xor_b32 s9, exec_lo, -1
; %bb.908:                              ;   in Loop: Header=BB4_530 Depth=2
	s_or_b32 exec_lo, exec_lo, s21
	s_delay_alu instid0(SALU_CYCLE_1)
	s_and_b32 s9, s9, exec_lo
	s_or_saveexec_b32 s20, s20
	v_mov_b32_e32 v18, s19
	s_xor_b32 exec_lo, exec_lo, s20
	s_cbranch_execz .LBB4_751
.LBB4_909:                              ;   in Loop: Header=BB4_530 Depth=2
	v_cmp_ne_u16_e64 vcc_lo, 0, v133
	v_mov_b32_e32 v18, 0
	s_and_not1_b32 s9, s9, exec_lo
	s_delay_alu instid0(VALU_DEP_2) | instskip(NEXT) | instid1(SALU_CYCLE_1)
	s_and_b32 s19, vcc_lo, exec_lo
	s_or_b32 s9, s9, s19
	s_or_b32 exec_lo, exec_lo, s20
	s_and_saveexec_b32 s19, s9
	s_cbranch_execnz .LBB4_752
	s_branch .LBB4_753
.LBB4_910:                              ;   in Loop: Header=BB4_530 Depth=2
	s_mov_b32 s9, -1
	s_mov_b32 s21, exec_lo
                                        ; implicit-def: $sgpr19
	v_cmpx_eq_u16_e32 0x80, v18
; %bb.911:                              ;   in Loop: Header=BB4_530 Depth=2
	s_mov_b32 s19, 0x7f800001
	s_xor_b32 s9, exec_lo, -1
; %bb.912:                              ;   in Loop: Header=BB4_530 Depth=2
	s_or_b32 exec_lo, exec_lo, s21
	s_delay_alu instid0(SALU_CYCLE_1)
	s_and_b32 s9, s9, exec_lo
	s_or_saveexec_b32 s20, s20
	v_mov_b32_e32 v134, s19
	s_xor_b32 exec_lo, exec_lo, s20
	s_cbranch_execz .LBB4_757
.LBB4_913:                              ;   in Loop: Header=BB4_530 Depth=2
	v_cmp_ne_u16_e32 vcc_lo, 0, v18
	v_mov_b32_e32 v134, 0
	s_and_not1_b32 s9, s9, exec_lo
	s_and_b32 s19, vcc_lo, exec_lo
	s_delay_alu instid0(SALU_CYCLE_1)
	s_or_b32 s9, s9, s19
	s_or_b32 exec_lo, exec_lo, s20
	s_and_saveexec_b32 s19, s9
	s_cbranch_execnz .LBB4_758
	s_branch .LBB4_759
.LBB4_914:                              ;   in Loop: Header=BB4_530 Depth=2
	s_mov_b32 s9, -1
	s_mov_b32 s21, exec_lo
                                        ; implicit-def: $sgpr19
	v_cmpx_eq_u16_e64 0x80, v133
; %bb.915:                              ;   in Loop: Header=BB4_530 Depth=2
	s_mov_b32 s19, 0x7f800001
	s_xor_b32 s9, exec_lo, -1
; %bb.916:                              ;   in Loop: Header=BB4_530 Depth=2
	s_or_b32 exec_lo, exec_lo, s21
	s_delay_alu instid0(SALU_CYCLE_1)
	s_and_b32 s9, s9, exec_lo
	s_or_saveexec_b32 s20, s20
	v_mov_b32_e32 v18, s19
	s_xor_b32 exec_lo, exec_lo, s20
	s_cbranch_execz .LBB4_761
.LBB4_917:                              ;   in Loop: Header=BB4_530 Depth=2
	v_cmp_ne_u16_e64 vcc_lo, 0, v133
	v_mov_b32_e32 v18, 0
	s_and_not1_b32 s9, s9, exec_lo
	s_delay_alu instid0(VALU_DEP_2) | instskip(NEXT) | instid1(SALU_CYCLE_1)
	s_and_b32 s19, vcc_lo, exec_lo
	s_or_b32 s9, s9, s19
	s_or_b32 exec_lo, exec_lo, s20
	s_and_saveexec_b32 s19, s9
	s_cbranch_execnz .LBB4_762
	s_branch .LBB4_763
.LBB4_918:                              ;   in Loop: Header=BB4_32 Depth=1
	s_or_b32 exec_lo, exec_lo, s18
.LBB4_919:                              ;   in Loop: Header=BB4_32 Depth=1
	s_delay_alu instid0(SALU_CYCLE_1)
	s_or_b32 exec_lo, exec_lo, s10
	s_and_saveexec_b32 s8, s3
	s_cbranch_execz .LBB4_941
; %bb.920:                              ;   in Loop: Header=BB4_32 Depth=1
	s_and_saveexec_b32 s9, s4
	s_delay_alu instid0(SALU_CYCLE_1)
	s_xor_b32 s9, exec_lo, s9
	s_cbranch_execz .LBB4_938
; %bb.921:                              ;   in Loop: Header=BB4_32 Depth=1
	s_and_saveexec_b32 s10, s5
	s_cbranch_execz .LBB4_937
; %bb.922:                              ;   in Loop: Header=BB4_32 Depth=1
	s_mov_b32 s19, exec_lo
	s_mov_b32 s18, exec_lo
	v_mbcnt_lo_u32_b32 v17, s19, 0
	s_waitcnt vmcnt(0) lgkmcnt(0)
	s_waitcnt_vscnt null, 0x0
	buffer_gl1_inv
	buffer_gl0_inv
	v_cmpx_eq_u32_e32 0, v17
	s_cbranch_execz .LBB4_924
; %bb.923:                              ;   in Loop: Header=BB4_32 Depth=1
	s_bcnt1_i32_b32 s19, s19
	s_delay_alu instid0(SALU_CYCLE_1)
	v_mov_b32_e32 v54, s19
	ds_add_u64 v0, v[54:55]
	s_cbranch_execnz .LBB4_1010
.LBB4_924:                              ;   in Loop: Header=BB4_32 Depth=1
	s_or_b32 exec_lo, exec_lo, s18
	s_cbranch_execnz .LBB4_998
; %bb.925:                              ;   in Loop: Header=BB4_32 Depth=1
	ds_load_b64 v[17:18], v0
	v_add_co_u32 v2, vcc_lo, v2, v100
	v_add_co_ci_u32_e32 v3, vcc_lo, v3, v103, vcc_lo
	s_mov_b32 s18, exec_lo
	s_waitcnt lgkmcnt(0)
	s_delay_alu instid0(VALU_DEP_1)
	v_cmpx_lt_u64_e64 v[17:18], v[2:3]
	s_cbranch_execz .LBB4_936
; %bb.926:                              ;   in Loop: Header=BB4_32 Depth=1
	s_mov_b32 s19, 0
	s_mov_b32 s22, 0
                                        ; implicit-def: $sgpr20
                                        ; implicit-def: $sgpr21
	s_branch .LBB4_928
.LBB4_927:                              ;   in Loop: Header=BB4_928 Depth=2
	s_or_b32 exec_lo, exec_lo, s25
	s_delay_alu instid0(SALU_CYCLE_1) | instskip(NEXT) | instid1(SALU_CYCLE_1)
	s_and_b32 s23, exec_lo, s24
	s_or_b32 s19, s23, s19
	s_and_not1_b32 s20, s20, exec_lo
	s_and_b32 s23, s21, exec_lo
	s_delay_alu instid0(SALU_CYCLE_1)
	s_or_b32 s20, s20, s23
	s_and_not1_b32 exec_lo, exec_lo, s19
	s_cbranch_execz .LBB4_934
.LBB4_928:                              ;   Parent Loop BB4_32 Depth=1
                                        ; =>  This Inner Loop Header: Depth=2
	s_add_i32 s22, s22, 1
                                        ; implicit-def: $sgpr24
	s_delay_alu instid0(SALU_CYCLE_1) | instskip(SKIP_1) | instid1(SALU_CYCLE_1)
	s_cmpk_lg_i32 s22, 0x2710
	s_cselect_b32 s23, -1, 0
	s_and_b32 vcc_lo, exec_lo, s23
	s_cbranch_vccz .LBB4_932
.LBB4_929:                              ;   in Loop: Header=BB4_928 Depth=2
	s_and_not1_b32 s21, s21, exec_lo
	s_and_b32 s25, s24, exec_lo
	s_mov_b32 s24, -1
	s_or_b32 s21, s21, s25
	s_and_saveexec_b32 s25, s23
	s_cbranch_execz .LBB4_927
; %bb.930:                              ;   in Loop: Header=BB4_928 Depth=2
	s_sleep 1
	s_cbranch_execnz .LBB4_1018
; %bb.931:                              ;   in Loop: Header=BB4_928 Depth=2
	ds_load_b64 v[17:18], v0
	s_and_not1_b32 s21, s21, exec_lo
	s_waitcnt lgkmcnt(0)
	v_cmp_ge_u64_e32 vcc_lo, v[17:18], v[2:3]
	s_or_not1_b32 s24, vcc_lo, exec_lo
	s_branch .LBB4_927
.LBB4_932:                              ;   in Loop: Header=BB4_928 Depth=2
	s_cbranch_execnz .LBB4_1020
; %bb.933:                              ;   in Loop: Header=BB4_928 Depth=2
	ds_load_b64 v[17:18], v0
	s_and_not1_b32 s23, s23, exec_lo
	s_mov_b32 s22, 0
	s_mov_b32 s24, -1
	s_waitcnt lgkmcnt(0)
	flat_load_b32 v17, v[17:18] glc
	s_waitcnt vmcnt(0) lgkmcnt(0)
	buffer_gl1_inv
	buffer_gl0_inv
	v_cmp_eq_u32_e32 vcc_lo, 0, v17
	s_and_b32 s25, vcc_lo, exec_lo
	s_delay_alu instid0(SALU_CYCLE_1)
	s_or_b32 s23, s23, s25
	s_branch .LBB4_929
.LBB4_934:                              ;   in Loop: Header=BB4_32 Depth=1
	s_or_b32 exec_lo, exec_lo, s19
	s_and_saveexec_b32 s19, s20
	s_delay_alu instid0(SALU_CYCLE_1)
	s_xor_b32 s19, exec_lo, s19
	s_cbranch_execz .LBB4_936
; %bb.935:                              ;   in Loop: Header=BB4_32 Depth=1
	ds_store_b32 v0, v129
	s_cbranch_execnz .LBB4_1037
.LBB4_936:                              ;   in Loop: Header=BB4_32 Depth=1
	s_or_b32 exec_lo, exec_lo, s18
	;;#ASMSTART
	s_wakeup
	;;#ASMEND
.LBB4_937:                              ;   in Loop: Header=BB4_32 Depth=1
	s_or_b32 exec_lo, exec_lo, s10
.LBB4_938:                              ;   in Loop: Header=BB4_32 Depth=1
	s_and_not1_saveexec_b32 s9, s9
	s_cbranch_execz .LBB4_940
; %bb.939:                              ;   in Loop: Header=BB4_32 Depth=1
	s_waitcnt vmcnt(0) lgkmcnt(0)
	s_waitcnt_vscnt null, 0x0
	buffer_gl1_inv
	buffer_gl0_inv
	s_barrier
.LBB4_940:                              ;   in Loop: Header=BB4_32 Depth=1
	s_or_b32 exec_lo, exec_lo, s9
.LBB4_941:                              ;   in Loop: Header=BB4_32 Depth=1
	s_delay_alu instid0(SALU_CYCLE_1)
	s_or_b32 exec_lo, exec_lo, s8
	s_and_saveexec_b32 s8, s7
	s_cbranch_execz .LBB4_943
; %bb.942:                              ;   in Loop: Header=BB4_32 Depth=1
	v_add_co_u32 v48, vcc_lo, v48, 1
	v_add_co_ci_u32_e32 v49, vcc_lo, 0, v49, vcc_lo
	s_waitcnt vmcnt(0) lgkmcnt(0)
	s_waitcnt_vscnt null, 0x0
	flat_store_b64 v[36:37], v[48:49]
.LBB4_943:                              ;   in Loop: Header=BB4_32 Depth=1
	s_or_b32 exec_lo, exec_lo, s8
	v_add_co_u32 v9, vcc_lo, v9, v64
	v_add_co_ci_u32_e32 v10, vcc_lo, 0, v10, vcc_lo
	v_add_co_u32 v32, vcc_lo, v32, 1
	v_add_co_ci_u32_e32 v33, vcc_lo, 0, v33, vcc_lo
	s_delay_alu instid0(VALU_DEP_3) | instskip(SKIP_1) | instid1(VALU_DEP_1)
	v_cmp_ge_u64_e32 vcc_lo, v[9:10], v[7:8]
	v_add_co_u32 v5, s8, v5, v64
	v_add_co_ci_u32_e64 v6, s8, 0, v6, s8
	s_or_b32 s16, vcc_lo, s16
	s_delay_alu instid0(SALU_CYCLE_1)
	s_and_not1_b32 exec_lo, exec_lo, s16
	s_cbranch_execnz .LBB4_32
; %bb.944:
	s_or_b32 exec_lo, exec_lo, s16
.LBB4_945:
	s_delay_alu instid0(SALU_CYCLE_1)
	s_or_b32 exec_lo, exec_lo, s12
	s_and_saveexec_b32 s1, s11
	s_cbranch_execz .LBB4_947
; %bb.946:
	s_waitcnt vmcnt(0) lgkmcnt(0)
	flat_store_b64 v[27:28], v[48:49] offset:104
.LBB4_947:
	s_or_b32 exec_lo, exec_lo, s1
	s_and_saveexec_b32 s1, s0
	s_cbranch_execz .LBB4_949
; %bb.948:
	s_waitcnt vmcnt(0) lgkmcnt(0)
	flat_store_b64 v[34:35], v[15:16] offset:104
.LBB4_949:
	s_or_b32 exec_lo, exec_lo, s1
	s_delay_alu instid0(SALU_CYCLE_1)
	s_mov_b32 s0, exec_lo
	v_cmpx_ne_u32_e32 32, v1
	s_cbranch_execz .LBB4_1028
; %bb.950:
	s_mov_b32 s1, exec_lo
	v_cmpx_ne_u32_e64 v0, v1
	s_xor_b32 s1, exec_lo, s1
	s_cbranch_execz .LBB4_1026
; %bb.951:
	v_and_b32_e32 v0, 31, v31
	s_mov_b32 s2, exec_lo
	s_delay_alu instid0(VALU_DEP_1)
	v_cmpx_eq_u32_e32 0, v0
	s_cbranch_execz .LBB4_1025
; %bb.952:
	s_mov_b32 s4, exec_lo
	s_mov_b32 s3, exec_lo
	v_mbcnt_lo_u32_b32 v0, s4, 0
	s_waitcnt vmcnt(0) lgkmcnt(0)
	s_waitcnt_vscnt null, 0x0
	buffer_gl1_inv
	buffer_gl0_inv
	v_cmpx_eq_u32_e32 0, v0
	s_cbranch_execz .LBB4_954
; %bb.953:
	s_bcnt1_i32_b32 s4, s4
	s_delay_alu instid0(SALU_CYCLE_1)
	v_dual_mov_b32 v5, 0 :: v_dual_mov_b32 v4, s4
	ds_add_u64 v0, v[4:5]
	s_cbranch_execnz .LBB4_986
.LBB4_954:
	s_or_b32 exec_lo, exec_lo, s3
	s_cbranch_execnz .LBB4_971
; %bb.955:
	v_ashrrev_i32_e32 v0, 31, v1
	s_mov_b32 s3, exec_lo
	s_delay_alu instid0(VALU_DEP_1) | instskip(NEXT) | instid1(VALU_DEP_1)
	v_lshrrev_b32_e32 v0, 27, v0
	v_add_nc_u32_e32 v0, v1, v0
	ds_load_b64 v[4:5], v0
	v_ashrrev_i32_e32 v0, 5, v0
	s_delay_alu instid0(VALU_DEP_1) | instskip(SKIP_1) | instid1(VALU_DEP_2)
	v_ashrrev_i32_e32 v1, 31, v0
	v_add_co_u32 v0, vcc_lo, v2, v0
	v_add_co_ci_u32_e32 v1, vcc_lo, v3, v1, vcc_lo
	s_waitcnt lgkmcnt(0)
	s_delay_alu instid0(VALU_DEP_1)
	v_cmpx_lt_u64_e64 v[4:5], v[0:1]
	s_cbranch_execz .LBB4_1024
; %bb.956:
	s_mov_b32 s4, 0
	s_mov_b32 s7, 0
                                        ; implicit-def: $sgpr5
                                        ; implicit-def: $sgpr6
	s_branch .LBB4_976
.LBB4_957:
	s_trap 2
	s_sendmsg_rtn_b32 s0, sendmsg(MSG_RTN_GET_DOORBELL)
	s_mov_b32 ttmp2, m0
	s_waitcnt lgkmcnt(0)
	s_and_b32 s0, s0, 0x3ff
	s_delay_alu instid0(SALU_CYCLE_1) | instskip(NEXT) | instid1(SALU_CYCLE_1)
	s_bitset1_b32 s0, 10
	s_mov_b32 m0, s0
	s_sendmsg sendmsg(MSG_INTERRUPT)
	s_mov_b32 m0, ttmp2
.LBB4_958:                              ; =>This Inner Loop Header: Depth=1
	s_sethalt 5
	s_branch .LBB4_958
.LBB4_959:
	s_trap 2
	s_sendmsg_rtn_b32 s0, sendmsg(MSG_RTN_GET_DOORBELL)
	s_mov_b32 ttmp2, m0
	s_waitcnt lgkmcnt(0)
	s_and_b32 s0, s0, 0x3ff
	s_delay_alu instid0(SALU_CYCLE_1) | instskip(NEXT) | instid1(SALU_CYCLE_1)
	s_bitset1_b32 s0, 10
	s_mov_b32 m0, s0
	s_sendmsg sendmsg(MSG_INTERRUPT)
	s_mov_b32 m0, ttmp2
.LBB4_960:                              ; =>This Inner Loop Header: Depth=1
	s_sethalt 5
	s_branch .LBB4_960
.LBB4_961:
	s_trap 2
	s_sendmsg_rtn_b32 s0, sendmsg(MSG_RTN_GET_DOORBELL)
	s_mov_b32 ttmp2, m0
	s_waitcnt lgkmcnt(0)
	s_and_b32 s0, s0, 0x3ff
	s_delay_alu instid0(SALU_CYCLE_1) | instskip(NEXT) | instid1(SALU_CYCLE_1)
	s_bitset1_b32 s0, 10
	s_mov_b32 m0, s0
	s_sendmsg sendmsg(MSG_INTERRUPT)
	s_mov_b32 m0, ttmp2
.LBB4_962:                              ; =>This Inner Loop Header: Depth=1
	s_sethalt 5
	s_branch .LBB4_962
.LBB4_963:
	s_trap 2
	s_sendmsg_rtn_b32 s0, sendmsg(MSG_RTN_GET_DOORBELL)
	s_mov_b32 ttmp2, m0
	s_waitcnt lgkmcnt(0)
	s_and_b32 s0, s0, 0x3ff
	s_delay_alu instid0(SALU_CYCLE_1) | instskip(NEXT) | instid1(SALU_CYCLE_1)
	s_bitset1_b32 s0, 10
	s_mov_b32 m0, s0
	s_sendmsg sendmsg(MSG_INTERRUPT)
	s_mov_b32 m0, ttmp2
.LBB4_964:                              ; =>This Inner Loop Header: Depth=1
	s_sethalt 5
	s_branch .LBB4_964
.LBB4_965:
	s_trap 2
	s_sendmsg_rtn_b32 s0, sendmsg(MSG_RTN_GET_DOORBELL)
	s_mov_b32 ttmp2, m0
	s_waitcnt lgkmcnt(0)
	s_and_b32 s0, s0, 0x3ff
	s_delay_alu instid0(SALU_CYCLE_1) | instskip(NEXT) | instid1(SALU_CYCLE_1)
	s_bitset1_b32 s0, 10
	s_mov_b32 m0, s0
	s_sendmsg sendmsg(MSG_INTERRUPT)
	s_mov_b32 m0, ttmp2
.LBB4_966:                              ; =>This Inner Loop Header: Depth=1
	s_sethalt 5
	s_branch .LBB4_966
.LBB4_967:
	s_trap 2
	s_sendmsg_rtn_b32 s0, sendmsg(MSG_RTN_GET_DOORBELL)
	s_mov_b32 ttmp2, m0
	s_waitcnt lgkmcnt(0)
	s_and_b32 s0, s0, 0x3ff
	s_delay_alu instid0(SALU_CYCLE_1) | instskip(NEXT) | instid1(SALU_CYCLE_1)
	s_bitset1_b32 s0, 10
	s_mov_b32 m0, s0
	s_sendmsg sendmsg(MSG_INTERRUPT)
	s_mov_b32 m0, ttmp2
.LBB4_968:                              ; =>This Inner Loop Header: Depth=1
	s_sethalt 5
	s_branch .LBB4_968
.LBB4_969:
	s_trap 2
	s_sendmsg_rtn_b32 s0, sendmsg(MSG_RTN_GET_DOORBELL)
	s_mov_b32 ttmp2, m0
	s_waitcnt lgkmcnt(0)
	s_and_b32 s0, s0, 0x3ff
	s_delay_alu instid0(SALU_CYCLE_1) | instskip(NEXT) | instid1(SALU_CYCLE_1)
	s_bitset1_b32 s0, 10
	s_mov_b32 m0, s0
	s_sendmsg sendmsg(MSG_INTERRUPT)
	s_mov_b32 m0, ttmp2
.LBB4_970:                              ; =>This Inner Loop Header: Depth=1
	s_sethalt 5
	s_branch .LBB4_970
.LBB4_971:
	s_trap 2
	s_sendmsg_rtn_b32 s0, sendmsg(MSG_RTN_GET_DOORBELL)
	s_mov_b32 ttmp2, m0
	s_waitcnt lgkmcnt(0)
	s_and_b32 s0, s0, 0x3ff
	s_delay_alu instid0(SALU_CYCLE_1) | instskip(NEXT) | instid1(SALU_CYCLE_1)
	s_bitset1_b32 s0, 10
	s_mov_b32 m0, s0
	s_sendmsg sendmsg(MSG_INTERRUPT)
	s_mov_b32 m0, ttmp2
.LBB4_972:                              ; =>This Inner Loop Header: Depth=1
	s_sethalt 5
	s_branch .LBB4_972
.LBB4_973:
	s_trap 2
	s_sendmsg_rtn_b32 s0, sendmsg(MSG_RTN_GET_DOORBELL)
	s_mov_b32 ttmp2, m0
	s_waitcnt lgkmcnt(0)
	s_and_b32 s0, s0, 0x3ff
	s_delay_alu instid0(SALU_CYCLE_1) | instskip(NEXT) | instid1(SALU_CYCLE_1)
	s_bitset1_b32 s0, 10
	s_mov_b32 m0, s0
	s_sendmsg sendmsg(MSG_INTERRUPT)
	s_mov_b32 m0, ttmp2
.LBB4_974:                              ; =>This Inner Loop Header: Depth=1
	s_sethalt 5
	s_branch .LBB4_974
.LBB4_975:                              ;   in Loop: Header=BB4_976 Depth=1
	s_or_b32 exec_lo, exec_lo, s10
	s_delay_alu instid0(SALU_CYCLE_1) | instskip(NEXT) | instid1(SALU_CYCLE_1)
	s_and_b32 s8, exec_lo, s9
	s_or_b32 s4, s8, s4
	s_and_not1_b32 s5, s5, exec_lo
	s_and_b32 s8, s6, exec_lo
	s_delay_alu instid0(SALU_CYCLE_1)
	s_or_b32 s5, s5, s8
	s_and_not1_b32 exec_lo, exec_lo, s4
	s_cbranch_execz .LBB4_1022
.LBB4_976:                              ; =>This Inner Loop Header: Depth=1
	s_add_i32 s7, s7, 1
                                        ; implicit-def: $sgpr9
	s_delay_alu instid0(SALU_CYCLE_1) | instskip(SKIP_1) | instid1(SALU_CYCLE_1)
	s_cmpk_lg_i32 s7, 0x2710
	s_cselect_b32 s8, -1, 0
	s_and_b32 vcc_lo, exec_lo, s8
	s_cbranch_vccz .LBB4_980
.LBB4_977:                              ;   in Loop: Header=BB4_976 Depth=1
	s_and_not1_b32 s6, s6, exec_lo
	s_and_b32 s10, s9, exec_lo
	s_mov_b32 s9, -1
	s_or_b32 s6, s6, s10
	s_and_saveexec_b32 s10, s8
	s_cbranch_execz .LBB4_975
; %bb.978:                              ;   in Loop: Header=BB4_976 Depth=1
	s_sleep 1
	s_cbranch_execnz .LBB4_1000
; %bb.979:                              ;   in Loop: Header=BB4_976 Depth=1
	ds_load_b64 v[2:3], v0
	s_and_not1_b32 s6, s6, exec_lo
	s_waitcnt lgkmcnt(0)
	v_cmp_ge_u64_e32 vcc_lo, v[2:3], v[0:1]
	s_or_not1_b32 s9, vcc_lo, exec_lo
	s_branch .LBB4_975
.LBB4_980:                              ;   in Loop: Header=BB4_976 Depth=1
	s_cbranch_execnz .LBB4_1006
; %bb.981:                              ;   in Loop: Header=BB4_976 Depth=1
	ds_load_b64 v[2:3], v0
	s_and_not1_b32 s8, s8, exec_lo
	s_mov_b32 s7, 0
	s_mov_b32 s9, -1
	s_waitcnt lgkmcnt(0)
	flat_load_b32 v2, v[2:3] glc
	s_waitcnt vmcnt(0) lgkmcnt(0)
	buffer_gl1_inv
	buffer_gl0_inv
	v_cmp_eq_u32_e32 vcc_lo, 0, v2
	s_and_b32 s10, vcc_lo, exec_lo
	s_delay_alu instid0(SALU_CYCLE_1)
	s_or_b32 s8, s8, s10
	s_branch .LBB4_977
.LBB4_982:
	s_trap 2
	s_sendmsg_rtn_b32 s0, sendmsg(MSG_RTN_GET_DOORBELL)
	s_mov_b32 ttmp2, m0
	s_waitcnt lgkmcnt(0)
	s_and_b32 s0, s0, 0x3ff
	s_delay_alu instid0(SALU_CYCLE_1) | instskip(NEXT) | instid1(SALU_CYCLE_1)
	s_bitset1_b32 s0, 10
	s_mov_b32 m0, s0
	s_sendmsg sendmsg(MSG_INTERRUPT)
	s_mov_b32 m0, ttmp2
.LBB4_983:                              ; =>This Inner Loop Header: Depth=1
	s_sethalt 5
	s_branch .LBB4_983
.LBB4_984:
	s_trap 2
	s_sendmsg_rtn_b32 s0, sendmsg(MSG_RTN_GET_DOORBELL)
	s_mov_b32 ttmp2, m0
	s_waitcnt lgkmcnt(0)
	s_and_b32 s0, s0, 0x3ff
	s_delay_alu instid0(SALU_CYCLE_1) | instskip(NEXT) | instid1(SALU_CYCLE_1)
	s_bitset1_b32 s0, 10
	s_mov_b32 m0, s0
	s_sendmsg sendmsg(MSG_INTERRUPT)
	s_mov_b32 m0, ttmp2
.LBB4_985:                              ; =>This Inner Loop Header: Depth=1
	s_sethalt 5
	s_branch .LBB4_985
.LBB4_986:
	s_trap 2
	s_sendmsg_rtn_b32 s0, sendmsg(MSG_RTN_GET_DOORBELL)
	s_mov_b32 ttmp2, m0
	s_waitcnt lgkmcnt(0)
	s_and_b32 s0, s0, 0x3ff
	s_delay_alu instid0(SALU_CYCLE_1) | instskip(NEXT) | instid1(SALU_CYCLE_1)
	s_bitset1_b32 s0, 10
	s_mov_b32 m0, s0
	s_sendmsg sendmsg(MSG_INTERRUPT)
	s_mov_b32 m0, ttmp2
.LBB4_987:                              ; =>This Inner Loop Header: Depth=1
	s_sethalt 5
	s_branch .LBB4_987
.LBB4_988:
	s_trap 2
	s_sendmsg_rtn_b32 s0, sendmsg(MSG_RTN_GET_DOORBELL)
	s_mov_b32 ttmp2, m0
	s_waitcnt lgkmcnt(0)
	s_and_b32 s0, s0, 0x3ff
	s_delay_alu instid0(SALU_CYCLE_1) | instskip(NEXT) | instid1(SALU_CYCLE_1)
	s_bitset1_b32 s0, 10
	s_mov_b32 m0, s0
	s_sendmsg sendmsg(MSG_INTERRUPT)
	s_mov_b32 m0, ttmp2
.LBB4_989:                              ; =>This Inner Loop Header: Depth=1
	s_sethalt 5
	s_branch .LBB4_989
.LBB4_990:
	s_trap 2
	s_sendmsg_rtn_b32 s0, sendmsg(MSG_RTN_GET_DOORBELL)
	s_mov_b32 ttmp2, m0
	s_waitcnt lgkmcnt(0)
	s_and_b32 s0, s0, 0x3ff
	s_delay_alu instid0(SALU_CYCLE_1) | instskip(NEXT) | instid1(SALU_CYCLE_1)
	s_bitset1_b32 s0, 10
	s_mov_b32 m0, s0
	s_sendmsg sendmsg(MSG_INTERRUPT)
	s_mov_b32 m0, ttmp2
.LBB4_991:                              ; =>This Inner Loop Header: Depth=1
	s_sethalt 5
	s_branch .LBB4_991
.LBB4_992:
	s_trap 2
	s_sendmsg_rtn_b32 s0, sendmsg(MSG_RTN_GET_DOORBELL)
	s_mov_b32 ttmp2, m0
	s_waitcnt lgkmcnt(0)
	s_and_b32 s0, s0, 0x3ff
	s_delay_alu instid0(SALU_CYCLE_1) | instskip(NEXT) | instid1(SALU_CYCLE_1)
	s_bitset1_b32 s0, 10
	s_mov_b32 m0, s0
	s_sendmsg sendmsg(MSG_INTERRUPT)
	s_mov_b32 m0, ttmp2
.LBB4_993:                              ; =>This Inner Loop Header: Depth=1
	s_sethalt 5
	s_branch .LBB4_993
.LBB4_994:
	s_trap 2
	s_sendmsg_rtn_b32 s0, sendmsg(MSG_RTN_GET_DOORBELL)
	s_mov_b32 ttmp2, m0
	s_waitcnt lgkmcnt(0)
	s_and_b32 s0, s0, 0x3ff
	s_delay_alu instid0(SALU_CYCLE_1) | instskip(NEXT) | instid1(SALU_CYCLE_1)
	s_bitset1_b32 s0, 10
	s_mov_b32 m0, s0
	s_sendmsg sendmsg(MSG_INTERRUPT)
	s_mov_b32 m0, ttmp2
.LBB4_995:                              ; =>This Inner Loop Header: Depth=1
	s_sethalt 5
	s_branch .LBB4_995
.LBB4_996:
	s_trap 2
	s_sendmsg_rtn_b32 s0, sendmsg(MSG_RTN_GET_DOORBELL)
	s_mov_b32 ttmp2, m0
	s_waitcnt lgkmcnt(0)
	s_and_b32 s0, s0, 0x3ff
	s_delay_alu instid0(SALU_CYCLE_1) | instskip(NEXT) | instid1(SALU_CYCLE_1)
	s_bitset1_b32 s0, 10
	s_mov_b32 m0, s0
	s_sendmsg sendmsg(MSG_INTERRUPT)
	s_mov_b32 m0, ttmp2
.LBB4_997:                              ; =>This Inner Loop Header: Depth=1
	s_sethalt 5
	s_branch .LBB4_997
.LBB4_998:
	s_trap 2
	s_sendmsg_rtn_b32 s0, sendmsg(MSG_RTN_GET_DOORBELL)
	s_mov_b32 ttmp2, m0
	s_waitcnt lgkmcnt(0)
	s_and_b32 s0, s0, 0x3ff
	s_delay_alu instid0(SALU_CYCLE_1) | instskip(NEXT) | instid1(SALU_CYCLE_1)
	s_bitset1_b32 s0, 10
	s_mov_b32 m0, s0
	s_sendmsg sendmsg(MSG_INTERRUPT)
	s_mov_b32 m0, ttmp2
.LBB4_999:                              ; =>This Inner Loop Header: Depth=1
	s_sethalt 5
	s_branch .LBB4_999
.LBB4_1000:
	s_trap 2
	s_sendmsg_rtn_b32 s0, sendmsg(MSG_RTN_GET_DOORBELL)
	s_mov_b32 ttmp2, m0
	s_waitcnt lgkmcnt(0)
	s_and_b32 s0, s0, 0x3ff
	s_delay_alu instid0(SALU_CYCLE_1) | instskip(NEXT) | instid1(SALU_CYCLE_1)
	s_bitset1_b32 s0, 10
	s_mov_b32 m0, s0
	s_sendmsg sendmsg(MSG_INTERRUPT)
	s_mov_b32 m0, ttmp2
.LBB4_1001:                             ; =>This Inner Loop Header: Depth=1
	s_sethalt 5
	s_branch .LBB4_1001
.LBB4_1002:
	s_trap 2
	s_sendmsg_rtn_b32 s0, sendmsg(MSG_RTN_GET_DOORBELL)
	s_mov_b32 ttmp2, m0
	s_waitcnt lgkmcnt(0)
	s_and_b32 s0, s0, 0x3ff
	s_delay_alu instid0(SALU_CYCLE_1) | instskip(NEXT) | instid1(SALU_CYCLE_1)
	s_bitset1_b32 s0, 10
	s_mov_b32 m0, s0
	s_sendmsg sendmsg(MSG_INTERRUPT)
	s_mov_b32 m0, ttmp2
.LBB4_1003:                             ; =>This Inner Loop Header: Depth=1
	s_sethalt 5
	s_branch .LBB4_1003
.LBB4_1004:
	s_trap 2
	s_sendmsg_rtn_b32 s0, sendmsg(MSG_RTN_GET_DOORBELL)
	s_mov_b32 ttmp2, m0
	s_waitcnt lgkmcnt(0)
	s_and_b32 s0, s0, 0x3ff
	s_delay_alu instid0(SALU_CYCLE_1) | instskip(NEXT) | instid1(SALU_CYCLE_1)
	s_bitset1_b32 s0, 10
	s_mov_b32 m0, s0
	s_sendmsg sendmsg(MSG_INTERRUPT)
	s_mov_b32 m0, ttmp2
.LBB4_1005:                             ; =>This Inner Loop Header: Depth=1
	s_sethalt 5
	s_branch .LBB4_1005
.LBB4_1006:
	s_trap 2
	s_sendmsg_rtn_b32 s0, sendmsg(MSG_RTN_GET_DOORBELL)
	s_mov_b32 ttmp2, m0
	s_waitcnt lgkmcnt(0)
	s_and_b32 s0, s0, 0x3ff
	s_delay_alu instid0(SALU_CYCLE_1) | instskip(NEXT) | instid1(SALU_CYCLE_1)
	s_bitset1_b32 s0, 10
	s_mov_b32 m0, s0
	s_sendmsg sendmsg(MSG_INTERRUPT)
	s_mov_b32 m0, ttmp2
.LBB4_1007:                             ; =>This Inner Loop Header: Depth=1
	s_sethalt 5
	s_branch .LBB4_1007
.LBB4_1008:
	s_trap 2
	s_sendmsg_rtn_b32 s0, sendmsg(MSG_RTN_GET_DOORBELL)
	s_mov_b32 ttmp2, m0
	s_waitcnt lgkmcnt(0)
	s_and_b32 s0, s0, 0x3ff
	s_delay_alu instid0(SALU_CYCLE_1) | instskip(NEXT) | instid1(SALU_CYCLE_1)
	s_bitset1_b32 s0, 10
	s_mov_b32 m0, s0
	s_sendmsg sendmsg(MSG_INTERRUPT)
	s_mov_b32 m0, ttmp2
.LBB4_1009:                             ; =>This Inner Loop Header: Depth=1
	s_sethalt 5
	s_branch .LBB4_1009
.LBB4_1010:
	s_trap 2
	s_sendmsg_rtn_b32 s0, sendmsg(MSG_RTN_GET_DOORBELL)
	s_mov_b32 ttmp2, m0
	s_waitcnt lgkmcnt(0)
	s_and_b32 s0, s0, 0x3ff
	s_delay_alu instid0(SALU_CYCLE_1) | instskip(NEXT) | instid1(SALU_CYCLE_1)
	s_bitset1_b32 s0, 10
	s_mov_b32 m0, s0
	s_sendmsg sendmsg(MSG_INTERRUPT)
	s_mov_b32 m0, ttmp2
.LBB4_1011:                             ; =>This Inner Loop Header: Depth=1
	s_sethalt 5
	s_branch .LBB4_1011
.LBB4_1012:
	s_trap 2
	s_sendmsg_rtn_b32 s0, sendmsg(MSG_RTN_GET_DOORBELL)
	s_mov_b32 ttmp2, m0
	s_waitcnt lgkmcnt(0)
	s_and_b32 s0, s0, 0x3ff
	s_delay_alu instid0(SALU_CYCLE_1) | instskip(NEXT) | instid1(SALU_CYCLE_1)
	s_bitset1_b32 s0, 10
	s_mov_b32 m0, s0
	s_sendmsg sendmsg(MSG_INTERRUPT)
	s_mov_b32 m0, ttmp2
.LBB4_1013:                             ; =>This Inner Loop Header: Depth=1
	s_sethalt 5
	s_branch .LBB4_1013
.LBB4_1014:
	s_trap 2
	s_sendmsg_rtn_b32 s0, sendmsg(MSG_RTN_GET_DOORBELL)
	s_mov_b32 ttmp2, m0
	s_waitcnt lgkmcnt(0)
	s_and_b32 s0, s0, 0x3ff
	s_delay_alu instid0(SALU_CYCLE_1) | instskip(NEXT) | instid1(SALU_CYCLE_1)
	s_bitset1_b32 s0, 10
	s_mov_b32 m0, s0
	s_sendmsg sendmsg(MSG_INTERRUPT)
	s_mov_b32 m0, ttmp2
.LBB4_1015:                             ; =>This Inner Loop Header: Depth=1
	s_sethalt 5
	s_branch .LBB4_1015
.LBB4_1016:
	s_trap 2
	s_sendmsg_rtn_b32 s0, sendmsg(MSG_RTN_GET_DOORBELL)
	s_mov_b32 ttmp2, m0
	s_waitcnt lgkmcnt(0)
	s_and_b32 s0, s0, 0x3ff
	s_delay_alu instid0(SALU_CYCLE_1) | instskip(NEXT) | instid1(SALU_CYCLE_1)
	s_bitset1_b32 s0, 10
	s_mov_b32 m0, s0
	s_sendmsg sendmsg(MSG_INTERRUPT)
	s_mov_b32 m0, ttmp2
.LBB4_1017:                             ; =>This Inner Loop Header: Depth=1
	s_sethalt 5
	s_branch .LBB4_1017
.LBB4_1018:
	s_trap 2
	s_sendmsg_rtn_b32 s0, sendmsg(MSG_RTN_GET_DOORBELL)
	s_mov_b32 ttmp2, m0
	s_waitcnt lgkmcnt(0)
	s_and_b32 s0, s0, 0x3ff
	s_delay_alu instid0(SALU_CYCLE_1) | instskip(NEXT) | instid1(SALU_CYCLE_1)
	s_bitset1_b32 s0, 10
	s_mov_b32 m0, s0
	s_sendmsg sendmsg(MSG_INTERRUPT)
	s_mov_b32 m0, ttmp2
.LBB4_1019:                             ; =>This Inner Loop Header: Depth=1
	s_sethalt 5
	s_branch .LBB4_1019
.LBB4_1020:
	s_trap 2
	s_sendmsg_rtn_b32 s0, sendmsg(MSG_RTN_GET_DOORBELL)
	s_mov_b32 ttmp2, m0
	s_waitcnt lgkmcnt(0)
	s_and_b32 s0, s0, 0x3ff
	s_delay_alu instid0(SALU_CYCLE_1) | instskip(NEXT) | instid1(SALU_CYCLE_1)
	s_bitset1_b32 s0, 10
	s_mov_b32 m0, s0
	s_sendmsg sendmsg(MSG_INTERRUPT)
	s_mov_b32 m0, ttmp2
.LBB4_1021:                             ; =>This Inner Loop Header: Depth=1
	s_sethalt 5
	s_branch .LBB4_1021
.LBB4_1022:
	s_or_b32 exec_lo, exec_lo, s4
	s_and_saveexec_b32 s4, s5
	s_delay_alu instid0(SALU_CYCLE_1)
	s_xor_b32 s4, exec_lo, s4
	s_cbranch_execz .LBB4_1024
; %bb.1023:
	v_mov_b32_e32 v0, 1
	ds_store_b32 v0, v0
	s_cbranch_execnz .LBB4_1031
.LBB4_1024:
	s_or_b32 exec_lo, exec_lo, s3
	;;#ASMSTART
	s_wakeup
	;;#ASMEND
.LBB4_1025:
	s_or_b32 exec_lo, exec_lo, s2
.LBB4_1026:
	s_and_not1_saveexec_b32 s1, s1
	s_cbranch_execz .LBB4_1028
; %bb.1027:
	s_waitcnt vmcnt(0) lgkmcnt(0)
	s_waitcnt_vscnt null, 0x0
	buffer_gl1_inv
	buffer_gl0_inv
	s_barrier
.LBB4_1028:
	s_or_b32 exec_lo, exec_lo, s0
	s_waitcnt vmcnt(0) lgkmcnt(0)
	s_setpc_b64 s[30:31]
.LBB4_1029:
	s_trap 2
	s_sendmsg_rtn_b32 s0, sendmsg(MSG_RTN_GET_DOORBELL)
	s_mov_b32 ttmp2, m0
	s_waitcnt lgkmcnt(0)
	s_and_b32 s0, s0, 0x3ff
	s_delay_alu instid0(SALU_CYCLE_1) | instskip(NEXT) | instid1(SALU_CYCLE_1)
	s_bitset1_b32 s0, 10
	s_mov_b32 m0, s0
	s_sendmsg sendmsg(MSG_INTERRUPT)
	s_mov_b32 m0, ttmp2
.LBB4_1030:                             ; =>This Inner Loop Header: Depth=1
	s_sethalt 5
	s_branch .LBB4_1030
.LBB4_1031:
	s_trap 2
	s_sendmsg_rtn_b32 s0, sendmsg(MSG_RTN_GET_DOORBELL)
	s_mov_b32 ttmp2, m0
	s_waitcnt lgkmcnt(0)
	s_and_b32 s0, s0, 0x3ff
	s_delay_alu instid0(SALU_CYCLE_1) | instskip(NEXT) | instid1(SALU_CYCLE_1)
	s_bitset1_b32 s0, 10
	s_mov_b32 m0, s0
	s_sendmsg sendmsg(MSG_INTERRUPT)
	s_mov_b32 m0, ttmp2
.LBB4_1032:                             ; =>This Inner Loop Header: Depth=1
	s_sethalt 5
	s_branch .LBB4_1032
.LBB4_1033:
	s_trap 2
	s_sendmsg_rtn_b32 s0, sendmsg(MSG_RTN_GET_DOORBELL)
	s_mov_b32 ttmp2, m0
	s_waitcnt lgkmcnt(0)
	s_and_b32 s0, s0, 0x3ff
	s_delay_alu instid0(SALU_CYCLE_1) | instskip(NEXT) | instid1(SALU_CYCLE_1)
	s_bitset1_b32 s0, 10
	s_mov_b32 m0, s0
	s_sendmsg sendmsg(MSG_INTERRUPT)
	s_mov_b32 m0, ttmp2
.LBB4_1034:                             ; =>This Inner Loop Header: Depth=1
	s_sethalt 5
	s_branch .LBB4_1034
.LBB4_1035:
	s_trap 2
	s_sendmsg_rtn_b32 s0, sendmsg(MSG_RTN_GET_DOORBELL)
	s_mov_b32 ttmp2, m0
	s_waitcnt lgkmcnt(0)
	s_and_b32 s0, s0, 0x3ff
	s_delay_alu instid0(SALU_CYCLE_1) | instskip(NEXT) | instid1(SALU_CYCLE_1)
	s_bitset1_b32 s0, 10
	s_mov_b32 m0, s0
	s_sendmsg sendmsg(MSG_INTERRUPT)
	s_mov_b32 m0, ttmp2
.LBB4_1036:                             ; =>This Inner Loop Header: Depth=1
	s_sethalt 5
	s_branch .LBB4_1036
.LBB4_1037:
	s_trap 2
	s_sendmsg_rtn_b32 s0, sendmsg(MSG_RTN_GET_DOORBELL)
	s_mov_b32 ttmp2, m0
	s_waitcnt lgkmcnt(0)
	s_and_b32 s0, s0, 0x3ff
	s_delay_alu instid0(SALU_CYCLE_1) | instskip(NEXT) | instid1(SALU_CYCLE_1)
	s_bitset1_b32 s0, 10
	s_mov_b32 m0, s0
	s_sendmsg sendmsg(MSG_INTERRUPT)
	s_mov_b32 m0, ttmp2
.LBB4_1038:                             ; =>This Inner Loop Header: Depth=1
	s_sethalt 5
	s_branch .LBB4_1038
.Lfunc_end4:
	.size	_ZN12_GLOBAL__N_17runRingI12rccl_bfloat810FuncMinMaxIS1_E7ProtoLLLi0ELi4ELi0EEEviiP15ncclDevWorkColl, .Lfunc_end4-_ZN12_GLOBAL__N_17runRingI12rccl_bfloat810FuncMinMaxIS1_E7ProtoLLLi0ELi4ELi0EEEviiP15ncclDevWorkColl
                                        ; -- End function
	.section	.AMDGPU.csdata,"",@progbits
; Function info:
; codeLenInByte = 35184
; NumSgprs: 34
; NumVgprs: 166
; ScratchSize: 0
; MemoryBound: 0
	.text
	.p2align	2                               ; -- Begin function _Z53ncclDevFunc_ReduceScatter_RING_LL_MinMax_f8e5m2_0_0_4v
	.type	_Z53ncclDevFunc_ReduceScatter_RING_LL_MinMax_f8e5m2_0_0_4v,@function
_Z53ncclDevFunc_ReduceScatter_RING_LL_MinMax_f8e5m2_0_0_4v: ; @_Z53ncclDevFunc_ReduceScatter_RING_LL_MinMax_f8e5m2_0_0_4v
; %bb.0:
	s_waitcnt vmcnt(0) expcnt(0) lgkmcnt(0)
	s_mov_b32 s0, s33
	s_mov_b32 s33, s32
	s_or_saveexec_b32 s1, -1
	scratch_store_b32 off, v40, s33         ; 4-byte Folded Spill
	s_mov_b32 exec_lo, s1
	v_writelane_b32 v40, s0, 6
	s_add_i32 s32, s32, 16
	v_writelane_b32 v40, s34, 0
	v_writelane_b32 v40, s35, 1
	;; [unrolled: 1-line block ×6, first 2 shown]
	s_cbranch_execnz .LBB5_7
; %bb.1:
	ds_load_b32 v0, v0
	v_and_b32_e32 v166, 0x3ff, v31
	s_mov_b32 s0, exec_lo
	s_waitcnt lgkmcnt(0)
	s_delay_alu instid0(VALU_DEP_1)
	v_cmpx_lt_i32_e64 v166, v0
	s_cbranch_execz .LBB5_9
; %bb.2:
	s_load_b32 s1, s[8:9], 0x0
	v_mov_b32_e32 v1, 0
	s_waitcnt lgkmcnt(0)
	s_cmp_lt_u32 s12, s1
	s_cselect_b32 s1, 12, 18
	s_delay_alu instid0(SALU_CYCLE_1)
	s_add_u32 s2, s8, s1
	s_addc_u32 s3, s9, 0
	s_mov_b32 s1, 0
	global_load_u16 v1, v1, s[2:3]
	s_cbranch_execnz .LBB5_24
; %bb.3:
	ds_load_b32 v2, v0
	v_mov_b32_e32 v3, v166
	s_mov_b32 s2, 0
                                        ; implicit-def: $vgpr4
	s_waitcnt vmcnt(0) lgkmcnt(0)
	v_mul_lo_u32 v2, v2, v1
	s_branch .LBB5_5
	.p2align	6
.LBB5_4:                                ;   in Loop: Header=BB5_5 Depth=1
	s_or_b32 exec_lo, exec_lo, s3
	v_add_nc_u32_e32 v3, v3, v1
	v_add_nc_u32_e32 v4, v4, v2
	s_delay_alu instid0(VALU_DEP_2) | instskip(SKIP_1) | instid1(SALU_CYCLE_1)
	v_cmp_ge_i32_e32 vcc_lo, v3, v0
	s_or_b32 s1, vcc_lo, s1
	s_and_not1_b32 exec_lo, exec_lo, s1
	s_cbranch_execz .LBB5_9
.LBB5_5:                                ; =>This Inner Loop Header: Depth=1
	ds_load_b32 v5, v4
	s_mov_b32 s3, exec_lo
	s_waitcnt lgkmcnt(0)
	v_and_b32_e32 v5, 0x1000000, v5
	s_delay_alu instid0(VALU_DEP_1)
	v_cmpx_ne_u32_e32 0, v5
	s_cbranch_execz .LBB5_4
; %bb.6:                                ;   in Loop: Header=BB5_5 Depth=1
	ds_load_b64 v[5:6], v4 offset:104
	s_waitcnt lgkmcnt(0)
	flat_load_u8 v5, v[5:6]
	s_waitcnt vmcnt(0) lgkmcnt(0)
	v_dual_mov_b32 v6, s2 :: v_dual_and_b32 v5, 0xffff, v5
	ds_store_b64 v4, v[5:6] offset:104
	s_branch .LBB5_4
.LBB5_7:
	s_trap 2
	s_sendmsg_rtn_b32 s0, sendmsg(MSG_RTN_GET_DOORBELL)
	s_mov_b32 ttmp2, m0
	s_waitcnt lgkmcnt(0)
	s_and_b32 s0, s0, 0x3ff
	s_delay_alu instid0(SALU_CYCLE_1) | instskip(NEXT) | instid1(SALU_CYCLE_1)
	s_bitset1_b32 s0, 10
	s_mov_b32 m0, s0
	s_sendmsg sendmsg(MSG_INTERRUPT)
	s_mov_b32 m0, ttmp2
.LBB5_8:                                ; =>This Inner Loop Header: Depth=1
	s_sethalt 5
	s_branch .LBB5_8
.LBB5_9:
	s_or_b32 exec_lo, exec_lo, s0
	s_waitcnt lgkmcnt(0)
	s_waitcnt_vscnt null, 0x0
	s_barrier
	buffer_gl0_inv
	s_cbranch_execnz .LBB5_22
; %bb.10:
	ds_load_b32 v0, v0
	s_waitcnt lgkmcnt(0)
	v_cmp_gt_i32_e32 vcc_lo, 1, v0
	s_cbranch_vccnz .LBB5_21
; %bb.11:
	s_mov_b32 s36, 0
	s_mov_b64 s[34:35], src_shared_base
.LBB5_12:                               ; =>This Inner Loop Header: Depth=1
	s_cbranch_execnz .LBB5_26
; %bb.13:                               ;   in Loop: Header=BB5_12 Depth=1
	ds_load_b32 v0, v0
	s_cmp_eq_u32 s36, 0
	s_cbranch_scc1 .LBB5_17
; %bb.14:                               ;   in Loop: Header=BB5_12 Depth=1
	s_cbranch_execnz .LBB5_30
; %bb.15:                               ;   in Loop: Header=BB5_12 Depth=1
	s_waitcnt lgkmcnt(0)
	ds_load_b32 v1, v0
	s_waitcnt lgkmcnt(0)
	v_xor_b32_e32 v1, v1, v0
	s_delay_alu instid0(VALU_DEP_1) | instskip(NEXT) | instid1(VALU_DEP_1)
	v_and_b32_e32 v1, 0xff0000, v1
	v_cmp_eq_u32_e32 vcc_lo, 0, v1
	s_cbranch_vccnz .LBB5_17
; %bb.16:                               ;   in Loop: Header=BB5_12 Depth=1
	s_waitcnt_vscnt null, 0x0
	s_barrier
	buffer_gl0_inv
	ds_load_b32 v0, v0
.LBB5_17:                               ;   in Loop: Header=BB5_12 Depth=1
	s_waitcnt lgkmcnt(0)
	v_lshrrev_b32_e32 v0, 11, v0
	s_mov_b32 s37, exec_lo
	s_delay_alu instid0(VALU_DEP_1) | instskip(NEXT) | instid1(VALU_DEP_1)
	v_and_b32_e32 v1, 0x1fe0, v0
	v_cmpx_lt_u32_e64 v166, v1
	s_cbranch_execz .LBB5_19
; %bb.18:                               ;   in Loop: Header=BB5_12 Depth=1
	v_dual_mov_b32 v0, v166 :: v_dual_mov_b32 v3, s35
	s_getpc_b64 s[0:1]
	s_add_u32 s0, s0, _ZN12_GLOBAL__N_17runRingI12rccl_bfloat810FuncMinMaxIS1_E7ProtoLLLi0ELi4ELi0EEEviiP15ncclDevWorkColl@rel32@lo+4
	s_addc_u32 s1, s1, _ZN12_GLOBAL__N_17runRingI12rccl_bfloat810FuncMinMaxIS1_E7ProtoLLLi0ELi4ELi0EEEviiP15ncclDevWorkColl@rel32@hi+12
	s_mov_b64 s[28:29], s[8:9]
	s_mov_b32 s34, s12
	s_swappc_b64 s[30:31], s[0:1]
	s_mov_b32 s12, s34
	s_mov_b64 s[8:9], s[28:29]
.LBB5_19:                               ;   in Loop: Header=BB5_12 Depth=1
	s_or_b32 exec_lo, exec_lo, s37
	s_cbranch_execnz .LBB5_28
; %bb.20:                               ;   in Loop: Header=BB5_12 Depth=1
	ds_load_b32 v0, v0
	s_add_i32 s36, s36, 1
	s_waitcnt lgkmcnt(0)
	v_cmp_lt_i32_e32 vcc_lo, s36, v0
	s_cbranch_vccnz .LBB5_12
.LBB5_21:
	v_readlane_b32 s30, v40, 4
	v_readlane_b32 s31, v40, 5
	;; [unrolled: 1-line block ×7, first 2 shown]
	s_or_saveexec_b32 s1, -1
	scratch_load_b32 v40, off, s33          ; 4-byte Folded Reload
	s_mov_b32 exec_lo, s1
	s_add_i32 s32, s32, -16
	s_mov_b32 s33, s0
	s_waitcnt vmcnt(0)
	s_setpc_b64 s[30:31]
.LBB5_22:
	s_trap 2
	s_sendmsg_rtn_b32 s0, sendmsg(MSG_RTN_GET_DOORBELL)
	s_mov_b32 ttmp2, m0
	s_waitcnt lgkmcnt(0)
	s_and_b32 s0, s0, 0x3ff
	s_delay_alu instid0(SALU_CYCLE_1) | instskip(NEXT) | instid1(SALU_CYCLE_1)
	s_bitset1_b32 s0, 10
	s_mov_b32 m0, s0
	s_sendmsg sendmsg(MSG_INTERRUPT)
	s_mov_b32 m0, ttmp2
.LBB5_23:                               ; =>This Inner Loop Header: Depth=1
	s_sethalt 5
	s_branch .LBB5_23
.LBB5_24:
	s_trap 2
	s_sendmsg_rtn_b32 s0, sendmsg(MSG_RTN_GET_DOORBELL)
	s_mov_b32 ttmp2, m0
	s_waitcnt lgkmcnt(0)
	s_and_b32 s0, s0, 0x3ff
	s_delay_alu instid0(SALU_CYCLE_1) | instskip(NEXT) | instid1(SALU_CYCLE_1)
	s_bitset1_b32 s0, 10
	s_mov_b32 m0, s0
	s_sendmsg sendmsg(MSG_INTERRUPT)
	s_mov_b32 m0, ttmp2
.LBB5_25:                               ; =>This Inner Loop Header: Depth=1
	s_sethalt 5
	s_branch .LBB5_25
.LBB5_26:
	s_trap 2
	s_sendmsg_rtn_b32 s0, sendmsg(MSG_RTN_GET_DOORBELL)
	s_mov_b32 ttmp2, m0
	s_waitcnt lgkmcnt(0)
	s_and_b32 s0, s0, 0x3ff
	s_delay_alu instid0(SALU_CYCLE_1) | instskip(NEXT) | instid1(SALU_CYCLE_1)
	s_bitset1_b32 s0, 10
	s_mov_b32 m0, s0
	s_sendmsg sendmsg(MSG_INTERRUPT)
	s_mov_b32 m0, ttmp2
.LBB5_27:                               ; =>This Inner Loop Header: Depth=1
	s_sethalt 5
	s_branch .LBB5_27
.LBB5_28:
	s_trap 2
	s_sendmsg_rtn_b32 s0, sendmsg(MSG_RTN_GET_DOORBELL)
	s_mov_b32 ttmp2, m0
	s_waitcnt lgkmcnt(0)
	s_and_b32 s0, s0, 0x3ff
	s_delay_alu instid0(SALU_CYCLE_1) | instskip(NEXT) | instid1(SALU_CYCLE_1)
	s_bitset1_b32 s0, 10
	s_mov_b32 m0, s0
	s_sendmsg sendmsg(MSG_INTERRUPT)
	s_mov_b32 m0, ttmp2
.LBB5_29:                               ; =>This Inner Loop Header: Depth=1
	s_sethalt 5
	s_branch .LBB5_29
.LBB5_30:
	s_trap 2
	s_sendmsg_rtn_b32 s0, sendmsg(MSG_RTN_GET_DOORBELL)
	s_mov_b32 ttmp2, m0
	s_waitcnt lgkmcnt(0)
	s_and_b32 s0, s0, 0x3ff
	s_delay_alu instid0(SALU_CYCLE_1) | instskip(NEXT) | instid1(SALU_CYCLE_1)
	s_bitset1_b32 s0, 10
	s_mov_b32 m0, s0
	s_sendmsg sendmsg(MSG_INTERRUPT)
	s_mov_b32 m0, ttmp2
.LBB5_31:                               ; =>This Inner Loop Header: Depth=1
	s_sethalt 5
	s_branch .LBB5_31
.Lfunc_end5:
	.size	_Z53ncclDevFunc_ReduceScatter_RING_LL_MinMax_f8e5m2_0_0_4v, .Lfunc_end5-_Z53ncclDevFunc_ReduceScatter_RING_LL_MinMax_f8e5m2_0_0_4v
                                        ; -- End function
	.section	.AMDGPU.csdata,"",@progbits
; Function info:
; codeLenInByte = 992
; NumSgprs: 40
; NumVgprs: 167
; ScratchSize: 16
; MemoryBound: 0
	.text
	.p2alignl 7, 3214868480
	.fill 96, 4, 3214868480
	.type	__hip_cuid_e2480c1effc8697f,@object ; @__hip_cuid_e2480c1effc8697f
	.section	.bss,"aw",@nobits
	.globl	__hip_cuid_e2480c1effc8697f
__hip_cuid_e2480c1effc8697f:
	.byte	0                               ; 0x0
	.size	__hip_cuid_e2480c1effc8697f, 1

	.ident	"AMD clang version 19.0.0git (https://github.com/RadeonOpenCompute/llvm-project roc-6.4.0 25133 c7fe45cf4b819c5991fe208aaa96edf142730f1d)"
	.section	".note.GNU-stack","",@progbits
	.addrsig
	.addrsig_sym _Z53ncclDevFunc_ReduceScatter_RING_LL_MinMax_f8e5m2_0_0_1v
	.addrsig_sym _Z53ncclDevFunc_ReduceScatter_RING_LL_MinMax_f8e5m2_0_0_2v
	.addrsig_sym _Z53ncclDevFunc_ReduceScatter_RING_LL_MinMax_f8e5m2_0_0_4v
	.addrsig_sym ncclShmem
	.addrsig_sym __hip_cuid_e2480c1effc8697f
	.amdgpu_metadata
---
amdhsa.kernels:  []
amdhsa.target:   amdgcn-amd-amdhsa--gfx1100
amdhsa.version:
  - 1
  - 2
...

	.end_amdgpu_metadata
